;; amdgpu-corpus repo=ROCm/rocFFT kind=compiled arch=gfx1100 opt=O3
	.text
	.amdgcn_target "amdgcn-amd-amdhsa--gfx1100"
	.amdhsa_code_object_version 6
	.protected	bluestein_single_back_len784_dim1_dp_op_CI_CI ; -- Begin function bluestein_single_back_len784_dim1_dp_op_CI_CI
	.globl	bluestein_single_back_len784_dim1_dp_op_CI_CI
	.p2align	8
	.type	bluestein_single_back_len784_dim1_dp_op_CI_CI,@function
bluestein_single_back_len784_dim1_dp_op_CI_CI: ; @bluestein_single_back_len784_dim1_dp_op_CI_CI
; %bb.0:
	s_load_b128 s[16:19], s[0:1], 0x28
	v_mul_u32_u24_e32 v1, 0x493, v0
	s_mov_b32 s2, exec_lo
	v_mov_b32_e32 v195, 0
	s_delay_alu instid0(VALU_DEP_2) | instskip(NEXT) | instid1(VALU_DEP_1)
	v_lshrrev_b32_e32 v1, 16, v1
	v_add_nc_u32_e32 v194, s15, v1
	s_waitcnt lgkmcnt(0)
	s_delay_alu instid0(VALU_DEP_1)
	v_cmpx_gt_u64_e64 s[16:17], v[194:195]
	s_cbranch_execz .LBB0_2
; %bb.1:
	s_clause 0x1
	s_load_b128 s[4:7], s[0:1], 0x18
	s_load_b128 s[8:11], s[0:1], 0x0
	v_mul_lo_u16 v1, v1, 56
	s_mov_b32 s24, 0x37e14327
	s_mov_b32 s25, 0x3fe948f6
	;; [unrolled: 1-line block ×4, first 2 shown]
	v_sub_nc_u16 v0, v0, v1
	s_mov_b32 s17, 0x3fe77f67
	s_mov_b32 s21, 0x3fdc38aa
	;; [unrolled: 1-line block ×4, first 2 shown]
	v_and_b32_e32 v166, 0xffff, v0
	s_mov_b32 s29, 0x3fd5d0dc
	s_mov_b32 s23, 0xbfd5d0dc
	;; [unrolled: 1-line block ×4, first 2 shown]
	v_or_b32_e32 v7, 0x1c0, v166
	s_load_b64 s[0:1], s[0:1], 0x38
	s_waitcnt lgkmcnt(0)
	s_load_b128 s[12:15], s[4:5], 0x0
	s_add_u32 s30, s8, 0x3100
	v_mov_b32_e32 v9, v7
	v_lshlrev_b32_e32 v167, 4, v166
	s_addc_u32 s31, s9, 0
	v_add_nc_u32_e32 v120, 56, v166
	global_load_b128 v[26:29], v167, s[8:9]
	s_waitcnt lgkmcnt(0)
	v_mad_u64_u32 v[0:1], null, s14, v194, 0
	v_mad_u64_u32 v[2:3], null, s12, v166, 0
	s_mul_i32 s2, s13, 0x1880
	s_mul_hi_u32 s3, s12, 0x1880
	s_mul_i32 s4, s12, 0x1880
	s_add_i32 s3, s3, s2
	s_mul_hi_u32 s5, s12, 0xffffeb00
	s_mul_i32 s14, s13, 0xffffeb00
	s_delay_alu instid0(VALU_DEP_1) | instskip(SKIP_3) | instid1(SALU_CYCLE_1)
	v_mad_u64_u32 v[4:5], null, s15, v194, v[1:2]
	v_mad_u64_u32 v[5:6], null, s12, v7, 0
	s_mul_i32 s15, s12, 0xffffeb00
	s_sub_i32 s2, s5, s12
	s_add_i32 s2, s2, s14
	s_delay_alu instid0(VALU_DEP_2) | instskip(NEXT) | instid1(VALU_DEP_2)
	v_mad_u64_u32 v[7:8], null, s13, v166, v[3:4]
	v_dual_mov_b32 v1, v4 :: v_dual_mov_b32 v4, v6
	s_delay_alu instid0(VALU_DEP_1) | instskip(NEXT) | instid1(VALU_DEP_3)
	v_lshlrev_b64 v[0:1], 4, v[0:1]
	v_mov_b32_e32 v3, v7
	s_delay_alu instid0(VALU_DEP_3) | instskip(NEXT) | instid1(VALU_DEP_2)
	v_mad_u64_u32 v[6:7], null, s13, v9, v[4:5]
	v_lshlrev_b64 v[2:3], 4, v[2:3]
	s_delay_alu instid0(VALU_DEP_4) | instskip(SKIP_2) | instid1(VALU_DEP_2)
	v_add_co_u32 v0, vcc_lo, s18, v0
	v_add_co_ci_u32_e32 v7, vcc_lo, s19, v1, vcc_lo
	s_mov_b32 s19, 0xbfe11646
	v_add_co_u32 v1, vcc_lo, v0, v2
	s_delay_alu instid0(VALU_DEP_2)
	v_add_co_ci_u32_e32 v2, vcc_lo, v7, v3, vcc_lo
	v_lshlrev_b64 v[3:4], 4, v[5:6]
	v_lshlrev_b32_e32 v5, 4, v9
	scratch_store_b32 off, v9, off          ; 4-byte Folded Spill
	global_load_b128 v[12:15], v[1:2], off
	s_mov_b32 s18, 0xe976ee23
	scratch_store_b32 off, v5, off offset:84 ; 4-byte Folded Spill
	v_add_co_u32 v3, vcc_lo, v0, v3
	v_add_co_ci_u32_e32 v4, vcc_lo, v7, v4, vcc_lo
	global_load_b128 v[30:33], v5, s[8:9]
	global_load_b128 v[16:19], v[3:4], off
	v_add_co_u32 v1, vcc_lo, v1, s4
	v_add_co_ci_u32_e32 v2, vcc_lo, s3, v2, vcc_lo
	v_add_co_u32 v0, s5, s8, v167
	s_delay_alu instid0(VALU_DEP_3) | instskip(SKIP_1) | instid1(VALU_DEP_4)
	v_add_co_u32 v7, vcc_lo, v1, s15
	v_add_co_ci_u32_e64 v11, null, s9, 0, s5
	v_add_co_ci_u32_e32 v8, vcc_lo, s2, v2, vcc_lo
	global_load_b128 v[34:37], v167, s[8:9] offset:896
	global_load_b128 v[20:23], v[7:8], off
	s_waitcnt vmcnt(5)
	scratch_store_b128 off, v[26:29], off offset:68 ; 16-byte Folded Spill
	s_waitcnt vmcnt(4)
	v_mul_f64 v[3:4], v[14:15], v[28:29]
	v_mul_f64 v[5:6], v[12:13], v[28:29]
	s_waitcnt vmcnt(3)
	scratch_store_b128 off, v[30:33], off offset:4 ; 16-byte Folded Spill
	s_waitcnt vmcnt(2)
	v_mul_f64 v[9:10], v[18:19], v[32:33]
	v_mul_f64 v[24:25], v[16:17], v[32:33]
	v_fma_f64 v[56:57], v[12:13], v[26:27], v[3:4]
	v_add_co_u32 v3, vcc_lo, 0x1000, v0
	v_add_co_ci_u32_e32 v4, vcc_lo, 0, v11, vcc_lo
	v_fma_f64 v[58:59], v[14:15], v[26:27], -v[5:6]
	v_fma_f64 v[60:61], v[16:17], v[30:31], v[9:10]
	v_fma_f64 v[62:63], v[18:19], v[30:31], -v[24:25]
	global_load_b128 v[24:27], v[1:2], off
	s_clause 0x1
	global_load_b128 v[16:19], v[3:4], off offset:2176
	global_load_b128 v[12:15], v[3:4], off offset:3968
	s_waitcnt vmcnt(4)
	scratch_store_b128 off, v[34:37], off offset:36 ; 16-byte Folded Spill
	s_waitcnt vmcnt(1)
	v_mul_f64 v[1:2], v[26:27], v[18:19]
	v_mul_f64 v[5:6], v[24:25], v[18:19]
	scratch_store_b128 off, v[16:19], off offset:20 ; 16-byte Folded Spill
	v_fma_f64 v[64:65], v[24:25], v[16:17], v[1:2]
	v_mul_f64 v[1:2], v[22:23], v[36:37]
	v_fma_f64 v[66:67], v[26:27], v[16:17], -v[5:6]
	v_mul_f64 v[5:6], v[20:21], v[36:37]
	s_delay_alu instid0(VALU_DEP_3) | instskip(SKIP_1) | instid1(VALU_DEP_3)
	v_fma_f64 v[68:69], v[20:21], v[34:35], v[1:2]
	v_mad_u64_u32 v[1:2], null, 0x380, s12, v[7:8]
	v_fma_f64 v[70:71], v[22:23], v[34:35], -v[5:6]
	s_delay_alu instid0(VALU_DEP_2) | instskip(SKIP_2) | instid1(VALU_DEP_1)
	v_mad_u64_u32 v[5:6], null, 0x380, s13, v[2:3]
	s_mov_b32 s12, 0x429ad128
	s_mov_b32 s13, 0xbfebfeb5
	v_mov_b32_e32 v2, v5
	global_load_b128 v[28:31], v[1:2], off
	s_clause 0x1
	global_load_b128 v[186:189], v167, s[8:9] offset:1792
	global_load_b128 v[182:185], v167, s[8:9] offset:2688
	v_add_co_u32 v1, vcc_lo, v1, s4
	v_add_co_ci_u32_e32 v2, vcc_lo, s3, v2, vcc_lo
	s_waitcnt vmcnt(3)
	scratch_store_b128 off, v[12:15], off offset:52 ; 16-byte Folded Spill
	s_waitcnt vmcnt(1)
	v_mul_f64 v[5:6], v[30:31], v[188:189]
	v_mul_f64 v[7:8], v[28:29], v[188:189]
	s_delay_alu instid0(VALU_DEP_2) | instskip(NEXT) | instid1(VALU_DEP_2)
	v_fma_f64 v[72:73], v[28:29], v[186:187], v[5:6]
	v_fma_f64 v[74:75], v[30:31], v[186:187], -v[7:8]
	global_load_b128 v[28:31], v[1:2], off
	v_add_co_u32 v1, vcc_lo, v1, s15
	v_add_co_ci_u32_e32 v2, vcc_lo, s2, v2, vcc_lo
	s_waitcnt vmcnt(0)
	v_mul_f64 v[5:6], v[30:31], v[14:15]
	v_mul_f64 v[7:8], v[28:29], v[14:15]
	s_delay_alu instid0(VALU_DEP_2) | instskip(NEXT) | instid1(VALU_DEP_2)
	v_fma_f64 v[76:77], v[28:29], v[12:13], v[5:6]
	v_fma_f64 v[78:79], v[30:31], v[12:13], -v[7:8]
	global_load_b128 v[28:31], v[1:2], off
	v_add_co_u32 v1, vcc_lo, v1, s4
	v_add_co_ci_u32_e32 v2, vcc_lo, s3, v2, vcc_lo
	s_waitcnt vmcnt(0)
	v_mul_f64 v[5:6], v[30:31], v[184:185]
	v_mul_f64 v[7:8], v[28:29], v[184:185]
	s_delay_alu instid0(VALU_DEP_2)
	v_fma_f64 v[80:81], v[28:29], v[182:183], v[5:6]
	v_add_co_u32 v5, vcc_lo, 0x2000, v0
	v_add_co_ci_u32_e32 v6, vcc_lo, 0, v11, vcc_lo
	global_load_b128 v[36:39], v[1:2], off
	s_clause 0x1
	global_load_b128 v[178:181], v[5:6], off offset:768
	global_load_b128 v[174:177], v[5:6], off offset:1664
	v_add_co_u32 v1, vcc_lo, v1, s15
	v_add_co_ci_u32_e32 v2, vcc_lo, s2, v2, vcc_lo
	global_load_b128 v[170:173], v167, s[8:9] offset:3584
	global_load_b128 v[40:43], v[1:2], off
	v_fma_f64 v[82:83], v[30:31], v[182:183], -v[7:8]
	v_add_co_u32 v1, vcc_lo, v1, s4
	v_add_co_ci_u32_e32 v2, vcc_lo, s3, v2, vcc_lo
	v_lshlrev_b32_e32 v29, 5, v166
	v_lshlrev_b32_e32 v0, 5, v120
	s_mov_b32 s9, 0x3febfeb5
	s_mov_b32 s8, s12
	s_waitcnt vmcnt(3)
	v_mul_f64 v[7:8], v[38:39], v[180:181]
	v_mul_f64 v[9:10], v[36:37], v[180:181]
	s_delay_alu instid0(VALU_DEP_2) | instskip(NEXT) | instid1(VALU_DEP_2)
	v_fma_f64 v[84:85], v[36:37], v[178:179], v[7:8]
	v_fma_f64 v[86:87], v[38:39], v[178:179], -v[9:10]
	s_waitcnt vmcnt(0)
	v_mul_f64 v[7:8], v[42:43], v[172:173]
	v_mul_f64 v[9:10], v[40:41], v[172:173]
	s_delay_alu instid0(VALU_DEP_2) | instskip(NEXT) | instid1(VALU_DEP_2)
	v_fma_f64 v[88:89], v[40:41], v[170:171], v[7:8]
	v_fma_f64 v[90:91], v[42:43], v[170:171], -v[9:10]
	global_load_b128 v[40:43], v[1:2], off
	v_add_co_u32 v1, vcc_lo, v1, s15
	v_add_co_ci_u32_e32 v2, vcc_lo, s2, v2, vcc_lo
	s_waitcnt vmcnt(0)
	v_mul_f64 v[7:8], v[42:43], v[176:177]
	v_mul_f64 v[9:10], v[40:41], v[176:177]
	s_delay_alu instid0(VALU_DEP_2) | instskip(NEXT) | instid1(VALU_DEP_2)
	v_fma_f64 v[92:93], v[40:41], v[174:175], v[7:8]
	v_fma_f64 v[94:95], v[42:43], v[174:175], -v[9:10]
	s_clause 0x1
	global_load_b128 v[40:43], v[3:4], off offset:384
	global_load_b128 v[44:47], v[3:4], off offset:1280
	global_load_b128 v[48:51], v[1:2], off
	v_add_co_u32 v1, vcc_lo, v1, s4
	v_add_co_ci_u32_e32 v2, vcc_lo, s3, v2, vcc_lo
	s_waitcnt vmcnt(0)
	v_mul_f64 v[3:4], v[50:51], v[42:43]
	v_mul_f64 v[7:8], v[48:49], v[42:43]
	s_delay_alu instid0(VALU_DEP_2) | instskip(NEXT) | instid1(VALU_DEP_2)
	v_fma_f64 v[96:97], v[48:49], v[40:41], v[3:4]
	v_fma_f64 v[98:99], v[50:51], v[40:41], -v[7:8]
	s_clause 0x1
	global_load_b128 v[48:51], v[5:6], off offset:2560
	global_load_b128 v[52:55], v[5:6], off offset:3456
	global_load_b128 v[100:103], v[1:2], off
	v_add_co_u32 v1, vcc_lo, v1, s15
	v_add_co_ci_u32_e32 v2, vcc_lo, s2, v2, vcc_lo
	s_mov_b32 s14, 0xaaaaaaaa
	s_mov_b32 s15, 0xbff2aaaa
	global_load_b128 v[104:107], v[1:2], off
	v_add_co_u32 v1, vcc_lo, v1, s4
	v_add_co_ci_u32_e32 v2, vcc_lo, s3, v2, vcc_lo
	s_mov_b32 s2, 0x36b3c0b5
	s_mov_b32 s3, 0x3fac98ee
	global_load_b128 v[108:111], v[1:2], off
	s_waitcnt vmcnt(2)
	v_mul_f64 v[3:4], v[102:103], v[50:51]
	v_mul_f64 v[5:6], v[100:101], v[50:51]
	s_waitcnt vmcnt(0)
	v_mul_f64 v[1:2], v[110:111], v[54:55]
	s_delay_alu instid0(VALU_DEP_3) | instskip(SKIP_1) | instid1(VALU_DEP_4)
	v_fma_f64 v[100:101], v[100:101], v[48:49], v[3:4]
	v_mul_f64 v[3:4], v[106:107], v[46:47]
	v_fma_f64 v[102:103], v[102:103], v[48:49], -v[5:6]
	v_mul_f64 v[5:6], v[104:105], v[46:47]
	s_delay_alu instid0(VALU_DEP_3) | instskip(SKIP_1) | instid1(VALU_DEP_3)
	v_fma_f64 v[104:105], v[104:105], v[44:45], v[3:4]
	v_mul_f64 v[3:4], v[108:109], v[54:55]
	v_fma_f64 v[106:107], v[106:107], v[44:45], -v[5:6]
	v_fma_f64 v[108:109], v[108:109], v[52:53], v[1:2]
	s_delay_alu instid0(VALU_DEP_3)
	v_fma_f64 v[110:111], v[110:111], v[52:53], -v[3:4]
	ds_store_b128 v167, v[56:59]
	ds_store_b128 v167, v[68:71] offset:896
	ds_store_b128 v167, v[60:63] offset:7168
	ds_store_b128 v167, v[76:79] offset:8064
	ds_store_b128 v167, v[72:75] offset:1792
	ds_store_b128 v167, v[80:83] offset:2688
	ds_store_b128 v167, v[84:87] offset:8960
	ds_store_b128 v167, v[92:95] offset:9856
	ds_store_b128 v167, v[88:91] offset:3584
	ds_store_b128 v167, v[96:99] offset:4480
	ds_store_b128 v167, v[64:67] offset:6272
	ds_store_b128 v167, v[104:107] offset:5376
	ds_store_b128 v167, v[100:103] offset:10752
	ds_store_b128 v167, v[108:111] offset:11648
	s_load_b128 s[4:7], s[6:7], 0x0
	s_waitcnt lgkmcnt(0)
	s_waitcnt_vscnt null, 0x0
	s_barrier
	buffer_gl0_inv
	ds_load_b128 v[56:59], v167 offset:6272
	ds_load_b128 v[60:63], v167
	ds_load_b128 v[64:67], v167 offset:896
	ds_load_b128 v[68:71], v167 offset:5376
	;; [unrolled: 1-line block ×12, first 2 shown]
	s_waitcnt lgkmcnt(0)
	s_barrier
	buffer_gl0_inv
	v_add_f64 v[56:57], v[60:61], -v[56:57]
	v_add_f64 v[58:59], v[62:63], -v[58:59]
	;; [unrolled: 1-line block ×14, first 2 shown]
	v_fma_f64 v[60:61], v[60:61], 2.0, -v[56:57]
	v_fma_f64 v[62:63], v[62:63], 2.0, -v[58:59]
	;; [unrolled: 1-line block ×14, first 2 shown]
	ds_store_b128 v29, v[56:59] offset:16
	ds_store_b128 v29, v[60:63]
	scratch_store_b32 off, v0, off offset:108 ; 4-byte Folded Spill
	ds_store_b128 v29, v[64:67] offset:1792
	ds_store_b128 v0, v[72:75] offset:16
	v_lshlrev_b32_e32 v73, 1, v166
	v_and_b32_e32 v60, 1, v166
	s_delay_alu instid0(VALU_DEP_2)
	v_add_nc_u32_e32 v68, 0xe0, v73
	v_lshlrev_b32_e32 v169, 4, v73
	v_add_nc_u32_e32 v69, 0x150, v73
	v_add_nc_u32_e32 v71, 0x1c0, v73
	;; [unrolled: 1-line block ×3, first 2 shown]
	v_lshlrev_b32_e32 v0, 4, v68
	v_add_nc_u32_e32 v72, 0x2a0, v73
	scratch_store_b32 off, v0, off offset:104 ; 4-byte Folded Spill
	ds_store_b128 v169, v[80:83] offset:3584
	ds_store_b128 v0, v[76:79] offset:16
	v_lshlrev_b32_e32 v0, 4, v69
	scratch_store_b32 off, v0, off offset:100 ; 4-byte Folded Spill
	ds_store_b128 v0, v[88:91] offset:16
	ds_store_b128 v169, v[84:87] offset:5376
	;; [unrolled: 1-line block ×3, first 2 shown]
	v_lshlrev_b32_e32 v0, 4, v71
	scratch_store_b32 off, v0, off offset:96 ; 4-byte Folded Spill
	ds_store_b128 v0, v[92:95] offset:16
	v_lshlrev_b32_e32 v0, 4, v70
	scratch_store_b32 off, v0, off offset:92 ; 4-byte Folded Spill
	ds_store_b128 v0, v[104:107] offset:16
	ds_store_b128 v169, v[100:103] offset:8960
	;; [unrolled: 1-line block ×3, first 2 shown]
	v_lshlrev_b32_e32 v0, 4, v72
	scratch_store_b32 off, v0, off offset:88 ; 4-byte Folded Spill
	ds_store_b128 v0, v[108:111] offset:16
	v_lshlrev_b32_e32 v0, 4, v60
	s_waitcnt lgkmcnt(0)
	s_waitcnt_vscnt null, 0x0
	s_barrier
	buffer_gl0_inv
	global_load_b128 v[56:59], v0, s[10:11]
	ds_load_b128 v[61:64], v167 offset:6272
	ds_load_b128 v[74:77], v167 offset:5376
	v_and_or_b32 v0, 0x7c, v73, v60
	s_delay_alu instid0(VALU_DEP_1) | instskip(SKIP_3) | instid1(VALU_DEP_2)
	v_lshlrev_b32_e32 v0, 4, v0
	s_waitcnt vmcnt(0) lgkmcnt(1)
	v_mul_f64 v[1:2], v[63:64], v[58:59]
	v_mul_f64 v[3:4], v[61:62], v[58:59]
	v_fma_f64 v[1:2], v[61:62], v[56:57], -v[1:2]
	s_delay_alu instid0(VALU_DEP_2)
	v_fma_f64 v[3:4], v[63:64], v[56:57], v[3:4]
	ds_load_b128 v[61:64], v167 offset:7168
	ds_load_b128 v[78:81], v167 offset:8064
	s_waitcnt lgkmcnt(1)
	v_mul_f64 v[5:6], v[63:64], v[58:59]
	v_mul_f64 v[7:8], v[61:62], v[58:59]
	s_waitcnt lgkmcnt(0)
	v_mul_f64 v[9:10], v[80:81], v[58:59]
	v_mul_f64 v[11:12], v[78:79], v[58:59]
	s_delay_alu instid0(VALU_DEP_4) | instskip(NEXT) | instid1(VALU_DEP_4)
	v_fma_f64 v[5:6], v[61:62], v[56:57], -v[5:6]
	v_fma_f64 v[7:8], v[63:64], v[56:57], v[7:8]
	s_delay_alu instid0(VALU_DEP_4) | instskip(NEXT) | instid1(VALU_DEP_4)
	v_fma_f64 v[9:10], v[78:79], v[56:57], -v[9:10]
	v_fma_f64 v[11:12], v[80:81], v[56:57], v[11:12]
	ds_load_b128 v[61:64], v167 offset:8960
	ds_load_b128 v[78:81], v167 offset:9856
	s_waitcnt lgkmcnt(1)
	v_mul_f64 v[13:14], v[63:64], v[58:59]
	v_mul_f64 v[15:16], v[61:62], v[58:59]
	s_waitcnt lgkmcnt(0)
	v_mul_f64 v[17:18], v[80:81], v[58:59]
	v_mul_f64 v[19:20], v[78:79], v[58:59]
	s_delay_alu instid0(VALU_DEP_4) | instskip(NEXT) | instid1(VALU_DEP_4)
	v_fma_f64 v[13:14], v[61:62], v[56:57], -v[13:14]
	v_fma_f64 v[15:16], v[63:64], v[56:57], v[15:16]
	s_delay_alu instid0(VALU_DEP_4) | instskip(NEXT) | instid1(VALU_DEP_4)
	v_fma_f64 v[17:18], v[78:79], v[56:57], -v[17:18]
	v_fma_f64 v[19:20], v[80:81], v[56:57], v[19:20]
	ds_load_b128 v[61:64], v167 offset:10752
	ds_load_b128 v[78:81], v167 offset:11648
	s_waitcnt lgkmcnt(1)
	v_mul_f64 v[21:22], v[63:64], v[58:59]
	s_delay_alu instid0(VALU_DEP_1) | instskip(SKIP_1) | instid1(VALU_DEP_1)
	v_fma_f64 v[21:22], v[61:62], v[56:57], -v[21:22]
	v_mul_f64 v[61:62], v[61:62], v[58:59]
	v_fma_f64 v[65:66], v[63:64], v[56:57], v[61:62]
	s_waitcnt lgkmcnt(0)
	v_mul_f64 v[61:62], v[80:81], v[58:59]
	s_delay_alu instid0(VALU_DEP_1) | instskip(SKIP_1) | instid1(VALU_DEP_2)
	v_fma_f64 v[118:119], v[78:79], v[56:57], -v[61:62]
	v_mul_f64 v[61:62], v[78:79], v[58:59]
	v_add_f64 v[125:126], v[74:75], -v[118:119]
	s_delay_alu instid0(VALU_DEP_2)
	v_fma_f64 v[127:128], v[80:81], v[56:57], v[61:62]
	ds_load_b128 v[61:64], v167
	ds_load_b128 v[78:81], v167 offset:896
	ds_load_b128 v[90:93], v167 offset:1792
	ds_load_b128 v[94:97], v167 offset:2688
	ds_load_b128 v[106:109], v167 offset:3584
	ds_load_b128 v[110:113], v167 offset:4480
	scratch_store_b32 off, v0, off offset:136 ; 4-byte Folded Spill
	s_waitcnt lgkmcnt(0)
	s_waitcnt_vscnt null, 0x0
	s_barrier
	buffer_gl0_inv
	v_add_f64 v[82:83], v[61:62], -v[1:2]
	v_add_f64 v[84:85], v[63:64], -v[3:4]
	;; [unrolled: 1-line block ×12, first 2 shown]
	v_fma_f64 v[129:130], v[74:75], 2.0, -v[125:126]
	v_add_f64 v[127:128], v[76:77], -v[127:128]
	v_lshlrev_b32_e32 v74, 1, v120
	v_fma_f64 v[61:62], v[61:62], 2.0, -v[82:83]
	v_fma_f64 v[63:64], v[63:64], 2.0, -v[84:85]
	;; [unrolled: 1-line block ×8, first 2 shown]
	ds_store_b128 v0, v[82:85] offset:32
	ds_store_b128 v0, v[61:64]
	v_and_or_b32 v0, 0xfc, v74, v60
	v_fma_f64 v[106:107], v[106:107], 2.0, -v[114:115]
	v_fma_f64 v[108:109], v[108:109], 2.0, -v[116:117]
	;; [unrolled: 1-line block ×4, first 2 shown]
	v_lshlrev_b32_e32 v0, 4, v0
	v_fma_f64 v[131:132], v[76:77], 2.0, -v[127:128]
	v_and_b32_e32 v64, 3, v166
	scratch_store_b32 off, v0, off offset:132 ; 4-byte Folded Spill
	ds_store_b128 v0, v[78:81]
	ds_store_b128 v0, v[86:89] offset:32
	v_and_or_b32 v0, 0x1fc, v68, v60
	s_delay_alu instid0(VALU_DEP_1) | instskip(SKIP_4) | instid1(VALU_DEP_1)
	v_lshlrev_b32_e32 v0, 4, v0
	scratch_store_b32 off, v0, off offset:128 ; 4-byte Folded Spill
	ds_store_b128 v0, v[90:93]
	ds_store_b128 v0, v[98:101] offset:32
	v_and_or_b32 v0, 0x1fc, v69, v60
	v_lshlrev_b32_e32 v0, 4, v0
	scratch_store_b32 off, v0, off offset:124 ; 4-byte Folded Spill
	ds_store_b128 v0, v[94:97]
	ds_store_b128 v0, v[102:105] offset:32
	v_and_or_b32 v0, 0x3fc, v71, v60
	s_delay_alu instid0(VALU_DEP_1) | instskip(SKIP_4) | instid1(VALU_DEP_1)
	v_lshlrev_b32_e32 v0, 4, v0
	scratch_store_b32 off, v0, off offset:120 ; 4-byte Folded Spill
	ds_store_b128 v0, v[106:109]
	ds_store_b128 v0, v[114:117] offset:32
	v_and_or_b32 v0, 0x2fc, v70, v60
	v_lshlrev_b32_e32 v0, 4, v0
	scratch_store_b32 off, v0, off offset:116 ; 4-byte Folded Spill
	ds_store_b128 v0, v[110:113]
	ds_store_b128 v0, v[121:124] offset:32
	v_and_or_b32 v0, 0x3fc, v72, v60
	s_delay_alu instid0(VALU_DEP_1)
	v_lshlrev_b32_e32 v0, 4, v0
	scratch_store_b32 off, v0, off offset:112 ; 4-byte Folded Spill
	ds_store_b128 v0, v[129:132]
	ds_store_b128 v0, v[125:128] offset:32
	v_lshlrev_b32_e32 v0, 4, v64
	s_waitcnt lgkmcnt(0)
	s_waitcnt_vscnt null, 0x0
	s_barrier
	buffer_gl0_inv
	global_load_b128 v[60:63], v0, s[10:11] offset:32
	ds_load_b128 v[75:78], v167 offset:6272
	ds_load_b128 v[79:82], v167 offset:5376
	v_and_or_b32 v0, 0x78, v73, v64
	s_delay_alu instid0(VALU_DEP_1) | instskip(SKIP_3) | instid1(VALU_DEP_2)
	v_lshlrev_b32_e32 v0, 4, v0
	s_waitcnt vmcnt(0) lgkmcnt(1)
	v_mul_f64 v[1:2], v[77:78], v[62:63]
	v_mul_f64 v[3:4], v[75:76], v[62:63]
	v_fma_f64 v[1:2], v[75:76], v[60:61], -v[1:2]
	s_delay_alu instid0(VALU_DEP_2)
	v_fma_f64 v[3:4], v[77:78], v[60:61], v[3:4]
	ds_load_b128 v[75:78], v167 offset:7168
	ds_load_b128 v[83:86], v167 offset:8064
	s_waitcnt lgkmcnt(1)
	v_mul_f64 v[5:6], v[77:78], v[62:63]
	v_mul_f64 v[7:8], v[75:76], v[62:63]
	s_waitcnt lgkmcnt(0)
	v_mul_f64 v[9:10], v[85:86], v[62:63]
	v_mul_f64 v[11:12], v[83:84], v[62:63]
	s_delay_alu instid0(VALU_DEP_4) | instskip(NEXT) | instid1(VALU_DEP_4)
	v_fma_f64 v[5:6], v[75:76], v[60:61], -v[5:6]
	v_fma_f64 v[7:8], v[77:78], v[60:61], v[7:8]
	s_delay_alu instid0(VALU_DEP_4) | instskip(NEXT) | instid1(VALU_DEP_4)
	v_fma_f64 v[9:10], v[83:84], v[60:61], -v[9:10]
	v_fma_f64 v[11:12], v[85:86], v[60:61], v[11:12]
	ds_load_b128 v[75:78], v167 offset:8960
	ds_load_b128 v[83:86], v167 offset:9856
	s_waitcnt lgkmcnt(1)
	v_mul_f64 v[13:14], v[77:78], v[62:63]
	v_mul_f64 v[15:16], v[75:76], v[62:63]
	s_waitcnt lgkmcnt(0)
	v_mul_f64 v[17:18], v[85:86], v[62:63]
	v_mul_f64 v[19:20], v[83:84], v[62:63]
	s_delay_alu instid0(VALU_DEP_4) | instskip(NEXT) | instid1(VALU_DEP_4)
	v_fma_f64 v[13:14], v[75:76], v[60:61], -v[13:14]
	v_fma_f64 v[15:16], v[77:78], v[60:61], v[15:16]
	s_delay_alu instid0(VALU_DEP_4) | instskip(NEXT) | instid1(VALU_DEP_4)
	v_fma_f64 v[17:18], v[83:84], v[60:61], -v[17:18]
	v_fma_f64 v[19:20], v[85:86], v[60:61], v[19:20]
	ds_load_b128 v[75:78], v167 offset:10752
	ds_load_b128 v[83:86], v167 offset:11648
	s_waitcnt lgkmcnt(1)
	v_mul_f64 v[21:22], v[77:78], v[62:63]
	v_mul_f64 v[65:66], v[75:76], v[62:63]
	s_delay_alu instid0(VALU_DEP_2) | instskip(SKIP_2) | instid1(VALU_DEP_3)
	v_fma_f64 v[21:22], v[75:76], v[60:61], -v[21:22]
	s_waitcnt lgkmcnt(0)
	v_mul_f64 v[75:76], v[85:86], v[62:63]
	v_fma_f64 v[65:66], v[77:78], v[60:61], v[65:66]
	s_delay_alu instid0(VALU_DEP_2) | instskip(SKIP_1) | instid1(VALU_DEP_2)
	v_fma_f64 v[129:130], v[83:84], v[60:61], -v[75:76]
	v_mul_f64 v[75:76], v[83:84], v[62:63]
	v_add_f64 v[129:130], v[79:80], -v[129:130]
	s_delay_alu instid0(VALU_DEP_2)
	v_fma_f64 v[131:132], v[85:86], v[60:61], v[75:76]
	ds_load_b128 v[75:78], v167
	ds_load_b128 v[83:86], v167 offset:896
	ds_load_b128 v[95:98], v167 offset:1792
	;; [unrolled: 1-line block ×5, first 2 shown]
	scratch_store_b32 off, v0, off offset:164 ; 4-byte Folded Spill
	s_waitcnt lgkmcnt(0)
	s_waitcnt_vscnt null, 0x0
	s_barrier
	buffer_gl0_inv
	v_add_f64 v[87:88], v[75:76], -v[1:2]
	v_add_f64 v[89:90], v[77:78], -v[3:4]
	v_add_f64 v[91:92], v[83:84], -v[5:6]
	v_add_f64 v[93:94], v[85:86], -v[7:8]
	v_add_f64 v[103:104], v[95:96], -v[9:10]
	v_add_f64 v[105:106], v[97:98], -v[11:12]
	v_add_f64 v[107:108], v[99:100], -v[13:14]
	v_add_f64 v[109:110], v[101:102], -v[15:16]
	v_add_f64 v[121:122], v[111:112], -v[17:18]
	v_add_f64 v[123:124], v[113:114], -v[19:20]
	v_add_f64 v[125:126], v[115:116], -v[21:22]
	v_add_f64 v[127:128], v[117:118], -v[65:66]
	v_fma_f64 v[79:80], v[79:80], 2.0, -v[129:130]
	v_add_f64 v[131:132], v[81:82], -v[131:132]
	v_fma_f64 v[75:76], v[75:76], 2.0, -v[87:88]
	v_fma_f64 v[77:78], v[77:78], 2.0, -v[89:90]
	v_fma_f64 v[83:84], v[83:84], 2.0, -v[91:92]
	v_fma_f64 v[85:86], v[85:86], 2.0, -v[93:94]
	v_fma_f64 v[95:96], v[95:96], 2.0, -v[103:104]
	v_fma_f64 v[97:98], v[97:98], 2.0, -v[105:106]
	v_fma_f64 v[99:100], v[99:100], 2.0, -v[107:108]
	v_fma_f64 v[101:102], v[101:102], 2.0, -v[109:110]
	ds_store_b128 v0, v[87:90] offset:64
	ds_store_b128 v0, v[75:78]
	v_and_or_b32 v0, 0xf8, v74, v64
	v_fma_f64 v[111:112], v[111:112], 2.0, -v[121:122]
	v_fma_f64 v[113:114], v[113:114], 2.0, -v[123:124]
	;; [unrolled: 1-line block ×4, first 2 shown]
	v_lshlrev_b32_e32 v0, 4, v0
	v_fma_f64 v[81:82], v[81:82], 2.0, -v[131:132]
	v_and_b32_e32 v75, 7, v166
	scratch_store_b32 off, v0, off offset:160 ; 4-byte Folded Spill
	ds_store_b128 v0, v[83:86]
	ds_store_b128 v0, v[91:94] offset:64
	v_and_or_b32 v0, 0x1f8, v68, v64
	s_delay_alu instid0(VALU_DEP_1) | instskip(SKIP_4) | instid1(VALU_DEP_1)
	v_lshlrev_b32_e32 v0, 4, v0
	scratch_store_b32 off, v0, off offset:156 ; 4-byte Folded Spill
	ds_store_b128 v0, v[95:98]
	ds_store_b128 v0, v[103:106] offset:64
	v_and_or_b32 v0, 0x1f8, v69, v64
	v_lshlrev_b32_e32 v0, 4, v0
	scratch_store_b32 off, v0, off offset:152 ; 4-byte Folded Spill
	ds_store_b128 v0, v[99:102]
	ds_store_b128 v0, v[107:110] offset:64
	v_and_or_b32 v0, 0x3f8, v71, v64
	s_delay_alu instid0(VALU_DEP_1) | instskip(SKIP_4) | instid1(VALU_DEP_1)
	v_lshlrev_b32_e32 v0, 4, v0
	scratch_store_b32 off, v0, off offset:148 ; 4-byte Folded Spill
	ds_store_b128 v0, v[111:114]
	ds_store_b128 v0, v[121:124] offset:64
	v_and_or_b32 v0, 0x2f8, v70, v64
	v_lshlrev_b32_e32 v0, 4, v0
	scratch_store_b32 off, v0, off offset:144 ; 4-byte Folded Spill
	ds_store_b128 v0, v[115:118]
	ds_store_b128 v0, v[125:128] offset:64
	v_and_or_b32 v0, 0x3f8, v72, v64
	s_delay_alu instid0(VALU_DEP_1)
	v_lshlrev_b32_e32 v0, 4, v0
	scratch_store_b32 off, v0, off offset:140 ; 4-byte Folded Spill
	ds_store_b128 v0, v[79:82]
	ds_store_b128 v0, v[129:132] offset:64
	v_lshlrev_b32_e32 v0, 4, v75
	s_waitcnt lgkmcnt(0)
	s_waitcnt_vscnt null, 0x0
	s_barrier
	buffer_gl0_inv
	global_load_b128 v[64:67], v0, s[10:11] offset:96
	ds_load_b128 v[76:79], v167 offset:6272
	ds_load_b128 v[80:83], v167 offset:5376
	v_and_or_b32 v0, 0x70, v73, v75
	s_delay_alu instid0(VALU_DEP_1) | instskip(SKIP_1) | instid1(VALU_DEP_1)
	v_lshlrev_b32_e32 v168, 4, v0
	v_and_or_b32 v0, 0xf0, v74, v75
	v_lshlrev_b32_e32 v197, 4, v0
	v_and_or_b32 v0, 0x1f0, v68, v75
	s_delay_alu instid0(VALU_DEP_1) | instskip(SKIP_3) | instid1(VALU_DEP_2)
	v_lshlrev_b32_e32 v0, 4, v0
	s_waitcnt vmcnt(0) lgkmcnt(1)
	v_mul_f64 v[1:2], v[78:79], v[66:67]
	v_mul_f64 v[3:4], v[76:77], v[66:67]
	v_fma_f64 v[1:2], v[76:77], v[64:65], -v[1:2]
	s_delay_alu instid0(VALU_DEP_2)
	v_fma_f64 v[3:4], v[78:79], v[64:65], v[3:4]
	ds_load_b128 v[76:79], v167 offset:7168
	ds_load_b128 v[84:87], v167 offset:8064
	s_waitcnt lgkmcnt(1)
	v_mul_f64 v[5:6], v[78:79], v[66:67]
	v_mul_f64 v[7:8], v[76:77], v[66:67]
	s_waitcnt lgkmcnt(0)
	v_mul_f64 v[9:10], v[86:87], v[66:67]
	v_mul_f64 v[11:12], v[84:85], v[66:67]
	s_delay_alu instid0(VALU_DEP_4) | instskip(NEXT) | instid1(VALU_DEP_4)
	v_fma_f64 v[5:6], v[76:77], v[64:65], -v[5:6]
	v_fma_f64 v[7:8], v[78:79], v[64:65], v[7:8]
	s_delay_alu instid0(VALU_DEP_4) | instskip(NEXT) | instid1(VALU_DEP_4)
	v_fma_f64 v[9:10], v[84:85], v[64:65], -v[9:10]
	v_fma_f64 v[11:12], v[86:87], v[64:65], v[11:12]
	ds_load_b128 v[76:79], v167 offset:8960
	ds_load_b128 v[84:87], v167 offset:9856
	s_waitcnt lgkmcnt(1)
	v_mul_f64 v[13:14], v[78:79], v[66:67]
	v_mul_f64 v[15:16], v[76:77], v[66:67]
	s_waitcnt lgkmcnt(0)
	v_mul_f64 v[17:18], v[86:87], v[66:67]
	v_mul_f64 v[19:20], v[84:85], v[66:67]
	s_delay_alu instid0(VALU_DEP_4) | instskip(NEXT) | instid1(VALU_DEP_4)
	v_fma_f64 v[13:14], v[76:77], v[64:65], -v[13:14]
	v_fma_f64 v[15:16], v[78:79], v[64:65], v[15:16]
	s_delay_alu instid0(VALU_DEP_4) | instskip(NEXT) | instid1(VALU_DEP_4)
	v_fma_f64 v[17:18], v[84:85], v[64:65], -v[17:18]
	v_fma_f64 v[19:20], v[86:87], v[64:65], v[19:20]
	ds_load_b128 v[76:79], v167 offset:10752
	ds_load_b128 v[84:87], v167 offset:11648
	s_waitcnt lgkmcnt(1)
	v_mul_f64 v[21:22], v[78:79], v[66:67]
	s_delay_alu instid0(VALU_DEP_1) | instskip(SKIP_1) | instid1(VALU_DEP_1)
	v_fma_f64 v[21:22], v[76:77], v[64:65], -v[21:22]
	v_mul_f64 v[76:77], v[76:77], v[66:67]
	v_fma_f64 v[127:128], v[78:79], v[64:65], v[76:77]
	s_waitcnt lgkmcnt(0)
	v_mul_f64 v[76:77], v[86:87], v[66:67]
	s_delay_alu instid0(VALU_DEP_1) | instskip(SKIP_1) | instid1(VALU_DEP_2)
	v_fma_f64 v[129:130], v[84:85], v[64:65], -v[76:77]
	v_mul_f64 v[76:77], v[84:85], v[66:67]
	v_add_f64 v[129:130], v[80:81], -v[129:130]
	s_delay_alu instid0(VALU_DEP_2)
	v_fma_f64 v[131:132], v[86:87], v[64:65], v[76:77]
	ds_load_b128 v[76:79], v167
	ds_load_b128 v[84:87], v167 offset:896
	ds_load_b128 v[96:99], v167 offset:1792
	;; [unrolled: 1-line block ×5, first 2 shown]
	s_waitcnt lgkmcnt(0)
	s_barrier
	buffer_gl0_inv
	v_add_f64 v[88:89], v[76:77], -v[1:2]
	v_add_f64 v[92:93], v[84:85], -v[5:6]
	;; [unrolled: 1-line block ×12, first 2 shown]
	v_fma_f64 v[80:81], v[80:81], 2.0, -v[129:130]
	v_add_f64 v[131:132], v[82:83], -v[131:132]
	v_fma_f64 v[76:77], v[76:77], 2.0, -v[88:89]
	v_fma_f64 v[84:85], v[84:85], 2.0, -v[92:93]
	;; [unrolled: 1-line block ×12, first 2 shown]
	ds_store_b128 v168, v[88:91] offset:128
	ds_store_b128 v168, v[76:79]
	ds_store_b128 v197, v[84:87]
	ds_store_b128 v197, v[92:95] offset:128
	scratch_store_b32 off, v0, off offset:184 ; 4-byte Folded Spill
	ds_store_b128 v0, v[96:99]
	ds_store_b128 v0, v[104:107] offset:128
	v_and_or_b32 v0, 0x1f0, v69, v75
	v_fma_f64 v[82:83], v[82:83], 2.0, -v[131:132]
	s_delay_alu instid0(VALU_DEP_2) | instskip(SKIP_4) | instid1(VALU_DEP_1)
	v_lshlrev_b32_e32 v0, 4, v0
	scratch_store_b32 off, v0, off offset:180 ; 4-byte Folded Spill
	ds_store_b128 v0, v[100:103]
	ds_store_b128 v0, v[108:111] offset:128
	v_and_or_b32 v0, 0x3f0, v71, v75
	v_lshlrev_b32_e32 v0, 4, v0
	scratch_store_b32 off, v0, off offset:176 ; 4-byte Folded Spill
	ds_store_b128 v0, v[112:115]
	ds_store_b128 v0, v[121:124] offset:128
	v_and_or_b32 v0, 0x2f0, v70, v75
	v_and_b32_e32 v121, 15, v166
	v_and_b32_e32 v122, 15, v120
	s_delay_alu instid0(VALU_DEP_3) | instskip(NEXT) | instid1(VALU_DEP_3)
	v_lshlrev_b32_e32 v0, 4, v0
	v_mad_u64_u32 v[1:2], null, 0x60, v121, s[10:11]
	s_delay_alu instid0(VALU_DEP_3) | instskip(SKIP_4) | instid1(VALU_DEP_1)
	v_mad_u64_u32 v[19:20], null, 0x60, v122, s[10:11]
	scratch_store_b32 off, v0, off offset:172 ; 4-byte Folded Spill
	ds_store_b128 v0, v[116:119]
	ds_store_b128 v0, v[125:128] offset:128
	v_and_or_b32 v0, 0x3f0, v72, v75
	v_lshlrev_b32_e32 v0, 4, v0
	scratch_store_b32 off, v0, off offset:168 ; 4-byte Folded Spill
	ds_store_b128 v0, v[80:83]
	ds_store_b128 v0, v[129:132] offset:128
	s_waitcnt lgkmcnt(0)
	s_waitcnt_vscnt null, 0x0
	s_barrier
	buffer_gl0_inv
	s_clause 0x1
	global_load_b128 v[68:71], v[1:2], off offset:224
	global_load_b128 v[72:75], v[1:2], off offset:240
	ds_load_b128 v[76:79], v167 offset:1792
	ds_load_b128 v[80:83], v167 offset:2688
	v_lshrrev_b32_e32 v0, 4, v166
	s_delay_alu instid0(VALU_DEP_1) | instskip(NEXT) | instid1(VALU_DEP_1)
	v_mul_u32_u24_e32 v0, 0x70, v0
	v_or_b32_e32 v0, v0, v121
	s_waitcnt vmcnt(1) lgkmcnt(1)
	v_mul_f64 v[3:4], v[78:79], v[70:71]
	v_mul_f64 v[5:6], v[76:77], v[70:71]
	s_delay_alu instid0(VALU_DEP_2) | instskip(NEXT) | instid1(VALU_DEP_2)
	v_fma_f64 v[3:4], v[76:77], v[68:69], -v[3:4]
	v_fma_f64 v[5:6], v[78:79], v[68:69], v[5:6]
	ds_load_b128 v[76:79], v167 offset:3584
	ds_load_b128 v[84:87], v167 offset:4480
	s_waitcnt vmcnt(0) lgkmcnt(1)
	v_mul_f64 v[7:8], v[78:79], v[74:75]
	v_mul_f64 v[9:10], v[76:77], v[74:75]
	s_delay_alu instid0(VALU_DEP_2) | instskip(NEXT) | instid1(VALU_DEP_2)
	v_fma_f64 v[7:8], v[76:77], v[72:73], -v[7:8]
	v_fma_f64 v[9:10], v[78:79], v[72:73], v[9:10]
	s_clause 0x1
	global_load_b128 v[88:91], v[1:2], off offset:304
	global_load_b128 v[76:79], v[1:2], off offset:288
	ds_load_b128 v[92:95], v167 offset:10752
	ds_load_b128 v[112:115], v167 offset:11648
	s_waitcnt vmcnt(1) lgkmcnt(1)
	v_mul_f64 v[11:12], v[94:95], v[90:91]
	v_mul_f64 v[13:14], v[92:93], v[90:91]
	s_delay_alu instid0(VALU_DEP_2) | instskip(NEXT) | instid1(VALU_DEP_2)
	v_fma_f64 v[11:12], v[92:93], v[88:89], -v[11:12]
	v_fma_f64 v[13:14], v[94:95], v[88:89], v[13:14]
	ds_load_b128 v[92:95], v167 offset:8960
	ds_load_b128 v[116:119], v167 offset:9856
	s_clause 0x3
	global_load_b128 v[104:107], v[19:20], off offset:224
	global_load_b128 v[96:99], v[19:20], off offset:240
	;; [unrolled: 1-line block ×4, first 2 shown]
	s_waitcnt vmcnt(4) lgkmcnt(1)
	v_mul_f64 v[15:16], v[94:95], v[78:79]
	v_mul_f64 v[17:18], v[92:93], v[78:79]
	v_add_f64 v[137:138], v[3:4], v[11:12]
	v_add_f64 v[141:142], v[5:6], v[13:14]
	v_add_f64 v[3:4], v[3:4], -v[11:12]
	v_add_f64 v[5:6], v[5:6], -v[13:14]
	v_fma_f64 v[15:16], v[92:93], v[76:77], -v[15:16]
	v_fma_f64 v[17:18], v[94:95], v[76:77], v[17:18]
	s_delay_alu instid0(VALU_DEP_1) | instskip(SKIP_3) | instid1(VALU_DEP_1)
	v_add_f64 v[143:144], v[9:10], v[17:18]
	v_add_f64 v[9:10], v[9:10], -v[17:18]
	s_waitcnt vmcnt(3)
	v_mul_f64 v[21:22], v[82:83], v[106:107]
	v_fma_f64 v[21:22], v[80:81], v[104:105], -v[21:22]
	v_mul_f64 v[80:81], v[80:81], v[106:107]
	s_delay_alu instid0(VALU_DEP_1) | instskip(SKIP_2) | instid1(VALU_DEP_1)
	v_fma_f64 v[151:152], v[82:83], v[104:105], v[80:81]
	s_waitcnt vmcnt(2)
	v_mul_f64 v[80:81], v[86:87], v[98:99]
	v_fma_f64 v[153:154], v[84:85], v[96:97], -v[80:81]
	v_mul_f64 v[80:81], v[84:85], v[98:99]
	s_delay_alu instid0(VALU_DEP_1)
	v_fma_f64 v[155:156], v[86:87], v[96:97], v[80:81]
	s_clause 0x1
	global_load_b128 v[92:95], v[1:2], off offset:256
	global_load_b128 v[84:87], v[1:2], off offset:272
	s_waitcnt vmcnt(3)
	v_mul_f64 v[80:81], v[114:115], v[110:111]
	s_delay_alu instid0(VALU_DEP_1) | instskip(SKIP_1) | instid1(VALU_DEP_2)
	v_fma_f64 v[157:158], v[112:113], v[108:109], -v[80:81]
	v_mul_f64 v[80:81], v[112:113], v[110:111]
	v_add_f64 v[206:207], v[21:22], v[157:158]
	s_delay_alu instid0(VALU_DEP_2) | instskip(SKIP_2) | instid1(VALU_DEP_2)
	v_fma_f64 v[159:160], v[114:115], v[108:109], v[80:81]
	s_waitcnt vmcnt(2) lgkmcnt(0)
	v_mul_f64 v[80:81], v[118:119], v[102:103]
	v_add_f64 v[214:215], v[151:152], v[159:160]
	s_delay_alu instid0(VALU_DEP_2) | instskip(SKIP_1) | instid1(VALU_DEP_2)
	v_fma_f64 v[161:162], v[116:117], v[100:101], -v[80:81]
	v_mul_f64 v[80:81], v[116:117], v[102:103]
	v_add_f64 v[208:209], v[153:154], v[161:162]
	s_delay_alu instid0(VALU_DEP_2)
	v_fma_f64 v[198:199], v[118:119], v[100:101], v[80:81]
	ds_load_b128 v[80:83], v167 offset:5376
	ds_load_b128 v[123:126], v167 offset:6272
	v_add_f64 v[149:150], v[208:209], v[206:207]
	v_add_f64 v[216:217], v[155:156], v[198:199]
	s_waitcnt vmcnt(1) lgkmcnt(1)
	v_mul_f64 v[1:2], v[82:83], v[94:95]
	s_delay_alu instid0(VALU_DEP_1) | instskip(SKIP_1) | instid1(VALU_DEP_1)
	v_fma_f64 v[1:2], v[80:81], v[92:93], -v[1:2]
	v_mul_f64 v[80:81], v[80:81], v[94:95]
	v_fma_f64 v[131:132], v[82:83], v[92:93], v[80:81]
	ds_load_b128 v[80:83], v167 offset:7168
	ds_load_b128 v[127:130], v167 offset:8064
	s_waitcnt vmcnt(0) lgkmcnt(1)
	v_mul_f64 v[112:113], v[82:83], v[86:87]
	s_delay_alu instid0(VALU_DEP_1)
	v_fma_f64 v[133:134], v[80:81], v[84:85], -v[112:113]
	s_clause 0x1
	global_load_b128 v[116:119], v[19:20], off offset:256
	global_load_b128 v[112:115], v[19:20], off offset:272
	v_mul_f64 v[80:81], v[80:81], v[86:87]
	v_add_f64 v[139:140], v[1:2], v[133:134]
	v_add_f64 v[1:2], v[133:134], -v[1:2]
	s_delay_alu instid0(VALU_DEP_3) | instskip(NEXT) | instid1(VALU_DEP_1)
	v_fma_f64 v[135:136], v[82:83], v[84:85], v[80:81]
	v_add_f64 v[145:146], v[131:132], v[135:136]
	v_add_f64 v[11:12], v[135:136], -v[131:132]
	v_add_f64 v[135:136], v[9:10], -v[5:6]
	s_delay_alu instid0(VALU_DEP_3) | instskip(NEXT) | instid1(VALU_DEP_3)
	v_add_f64 v[224:225], v[145:146], -v[143:144]
	v_add_f64 v[17:18], v[11:12], -v[9:10]
	v_add_f64 v[9:10], v[11:12], v[9:10]
	s_delay_alu instid0(VALU_DEP_3) | instskip(NEXT) | instid1(VALU_DEP_3)
	v_mul_f64 v[131:132], v[224:225], s[2:3]
	v_mul_f64 v[17:18], v[17:18], s[18:19]
	s_delay_alu instid0(VALU_DEP_3) | instskip(SKIP_3) | instid1(VALU_DEP_2)
	v_add_f64 v[9:10], v[9:10], v[5:6]
	s_waitcnt vmcnt(1)
	v_mul_f64 v[80:81], v[123:124], v[118:119]
	v_mul_f64 v[19:20], v[125:126], v[118:119]
	v_fma_f64 v[200:201], v[125:126], v[116:117], v[80:81]
	s_waitcnt vmcnt(0) lgkmcnt(0)
	v_mul_f64 v[80:81], v[129:130], v[114:115]
	s_delay_alu instid0(VALU_DEP_3) | instskip(NEXT) | instid1(VALU_DEP_2)
	v_fma_f64 v[19:20], v[123:124], v[116:117], -v[19:20]
	v_fma_f64 v[202:203], v[127:128], v[112:113], -v[80:81]
	v_mul_f64 v[80:81], v[127:128], v[114:115]
	v_add_f64 v[127:128], v[7:8], v[15:16]
	v_add_f64 v[7:8], v[7:8], -v[15:16]
	s_delay_alu instid0(VALU_DEP_4) | instskip(NEXT) | instid1(VALU_DEP_4)
	v_add_f64 v[210:211], v[19:20], v[202:203]
	v_fma_f64 v[204:205], v[129:130], v[112:113], v[80:81]
	s_delay_alu instid0(VALU_DEP_4) | instskip(NEXT) | instid1(VALU_DEP_4)
	v_add_f64 v[80:81], v[127:128], v[137:138]
	v_add_f64 v[13:14], v[1:2], -v[7:8]
	v_add_f64 v[15:16], v[7:8], -v[3:4]
	v_add_f64 v[7:8], v[1:2], v[7:8]
	v_add_f64 v[222:223], v[127:128], -v[137:138]
	v_add_f64 v[137:138], v[137:138], -v[139:140]
	v_add_f64 v[1:2], v[3:4], -v[1:2]
	v_add_f64 v[212:213], v[210:211], v[149:150]
	v_add_f64 v[218:219], v[200:201], v[204:205]
	;; [unrolled: 1-line block ×5, first 2 shown]
	v_mul_f64 v[13:14], v[13:14], s[18:19]
	v_add_f64 v[143:144], v[143:144], -v[141:142]
	v_add_f64 v[7:8], v[7:8], v[3:4]
	v_add_f64 v[3:4], v[5:6], -v[11:12]
	v_mul_f64 v[5:6], v[15:16], s[12:13]
	v_mul_f64 v[11:12], v[135:136], s[12:13]
	v_add_f64 v[147:148], v[145:146], v[80:81]
	ds_load_b128 v[80:83], v167
	ds_load_b128 v[123:126], v167 offset:896
	v_add_f64 v[220:221], v[218:219], v[149:150]
	v_add_f64 v[149:150], v[139:140], -v[127:128]
	v_add_f64 v[139:140], v[141:142], -v[145:146]
	v_fma_f64 v[131:132], v[143:144], s[16:17], -v[131:132]
	v_fma_f64 v[5:6], v[1:2], s[22:23], v[5:6]
	v_fma_f64 v[11:12], v[3:4], s[22:23], v[11:12]
	;; [unrolled: 1-line block ×4, first 2 shown]
	s_waitcnt lgkmcnt(0)
	s_barrier
	buffer_gl0_inv
	v_add_f64 v[80:81], v[80:81], v[129:130]
	v_add_f64 v[123:124], v[123:124], v[212:213]
	;; [unrolled: 1-line block ×4, first 2 shown]
	v_mul_f64 v[127:128], v[149:150], s[2:3]
	v_mul_f64 v[145:146], v[139:140], s[24:25]
	v_fma_f64 v[5:6], v[7:8], s[20:21], v[5:6]
	v_fma_f64 v[11:12], v[9:10], s[20:21], v[11:12]
	;; [unrolled: 1-line block ×5, first 2 shown]
	v_fma_f64 v[129:130], v[15:16], s[8:9], -v[13:14]
	v_mul_f64 v[15:16], v[137:138], s[24:25]
	v_fma_f64 v[147:148], v[147:148], s[14:15], v[82:83]
	v_fma_f64 v[127:128], v[222:223], s[16:17], -v[127:128]
	v_fma_f64 v[137:138], v[143:144], s[26:27], -v[145:146]
	v_fma_f64 v[133:134], v[7:8], s[20:21], v[129:130]
	v_fma_f64 v[129:130], v[135:136], s[8:9], -v[17:18]
	v_fma_f64 v[135:136], v[222:223], s[26:27], -v[15:16]
	v_add_f64 v[232:233], v[131:132], v[147:148]
	v_add_f64 v[230:231], v[127:128], v[226:227]
	;; [unrolled: 1-line block ×3, first 2 shown]
	v_fma_f64 v[228:229], v[9:10], s[20:21], v[129:130]
	v_add_f64 v[139:140], v[135:136], v[226:227]
	v_add_f64 v[9:10], v[204:205], -v[200:201]
	v_fma_f64 v[204:205], v[212:213], s[14:15], v[123:124]
	v_add_f64 v[129:130], v[133:134], v[232:233]
	v_add_f64 v[133:134], v[232:233], -v[133:134]
	v_add_f64 v[137:138], v[141:142], -v[5:6]
	v_add_f64 v[141:142], v[5:6], v[141:142]
	v_fma_f64 v[5:6], v[149:150], s[2:3], v[15:16]
	v_add_f64 v[127:128], v[230:231], -v[228:229]
	v_add_f64 v[135:136], v[11:12], v[139:140]
	v_add_f64 v[139:140], v[139:140], -v[11:12]
	v_fma_f64 v[11:12], v[224:225], s[2:3], v[145:146]
	v_add_f64 v[131:132], v[228:229], v[230:231]
	v_add_f64 v[5:6], v[5:6], v[226:227]
	s_delay_alu instid0(VALU_DEP_3) | instskip(SKIP_2) | instid1(VALU_DEP_4)
	v_add_f64 v[7:8], v[11:12], v[147:148]
	v_add_f64 v[11:12], v[151:152], -v[159:160]
	v_add_f64 v[159:160], v[208:209], -v[206:207]
	v_add_f64 v[143:144], v[3:4], v[5:6]
	v_add_f64 v[147:148], v[5:6], -v[3:4]
	v_add_f64 v[3:4], v[202:203], -v[19:20]
	v_add_f64 v[5:6], v[21:22], -v[157:158]
	v_add_f64 v[21:22], v[210:211], -v[208:209]
	v_fma_f64 v[208:209], v[220:221], s[14:15], v[125:126]
	v_add_f64 v[145:146], v[7:8], -v[1:2]
	v_add_f64 v[149:150], v[1:2], v[7:8]
	v_add_f64 v[1:2], v[153:154], -v[161:162]
	v_add_f64 v[7:8], v[155:156], -v[198:199]
	;; [unrolled: 1-line block ×4, first 2 shown]
	v_mul_f64 v[151:152], v[21:22], s[2:3]
	v_add_f64 v[13:14], v[3:4], -v[1:2]
	v_add_f64 v[15:16], v[1:2], -v[5:6]
	v_add_f64 v[1:2], v[3:4], v[1:2]
	v_add_f64 v[17:18], v[9:10], -v[7:8]
	v_add_f64 v[19:20], v[7:8], -v[11:12]
	v_add_f64 v[7:8], v[9:10], v[7:8]
	v_mul_f64 v[153:154], v[198:199], s[2:3]
	v_add_f64 v[3:4], v[5:6], -v[3:4]
	v_fma_f64 v[151:152], v[159:160], s[16:17], -v[151:152]
	v_mul_f64 v[13:14], v[13:14], s[18:19]
	v_add_f64 v[1:2], v[1:2], v[5:6]
	v_mul_f64 v[17:18], v[17:18], s[18:19]
	v_add_f64 v[5:6], v[11:12], -v[9:10]
	v_add_f64 v[7:8], v[7:8], v[11:12]
	v_fma_f64 v[153:154], v[161:162], s[16:17], -v[153:154]
	v_mul_f64 v[9:10], v[15:16], s[12:13]
	v_mul_f64 v[11:12], v[19:20], s[12:13]
	v_add_f64 v[200:201], v[151:152], v[204:205]
	v_fma_f64 v[155:156], v[15:16], s[8:9], -v[13:14]
	v_add_f64 v[202:203], v[153:154], v[208:209]
	v_fma_f64 v[9:10], v[3:4], s[22:23], v[9:10]
	v_fma_f64 v[11:12], v[5:6], s[22:23], v[11:12]
	;; [unrolled: 1-line block ×5, first 2 shown]
	v_fma_f64 v[155:156], v[19:20], s[8:9], -v[17:18]
	v_fma_f64 v[9:10], v[1:2], s[20:21], v[9:10]
	v_fma_f64 v[11:12], v[7:8], s[20:21], v[11:12]
	;; [unrolled: 1-line block ×4, first 2 shown]
	v_add_f64 v[153:154], v[157:158], v[202:203]
	v_fma_f64 v[155:156], v[7:8], s[20:21], v[155:156]
	v_add_f64 v[157:158], v[202:203], -v[157:158]
	v_add_f64 v[202:203], v[214:215], -v[218:219]
	s_delay_alu instid0(VALU_DEP_3) | instskip(SKIP_2) | instid1(VALU_DEP_4)
	v_add_f64 v[151:152], v[200:201], -v[155:156]
	v_add_f64 v[155:156], v[155:156], v[200:201]
	v_add_f64 v[200:201], v[206:207], -v[210:211]
	v_mul_f64 v[19:20], v[202:203], s[24:25]
	s_delay_alu instid0(VALU_DEP_2) | instskip(NEXT) | instid1(VALU_DEP_2)
	v_mul_f64 v[15:16], v[200:201], s[24:25]
	v_fma_f64 v[161:162], v[161:162], s[26:27], -v[19:20]
	s_delay_alu instid0(VALU_DEP_2) | instskip(NEXT) | instid1(VALU_DEP_2)
	v_fma_f64 v[159:160], v[159:160], s[26:27], -v[15:16]
	v_add_f64 v[202:203], v[161:162], v[208:209]
	s_delay_alu instid0(VALU_DEP_2) | instskip(NEXT) | instid1(VALU_DEP_2)
	v_add_f64 v[200:201], v[159:160], v[204:205]
	v_add_f64 v[161:162], v[202:203], -v[9:10]
	v_add_f64 v[202:203], v[9:10], v[202:203]
	v_fma_f64 v[9:10], v[21:22], s[2:3], v[15:16]
	s_delay_alu instid0(VALU_DEP_4) | instskip(SKIP_2) | instid1(VALU_DEP_4)
	v_add_f64 v[159:160], v[11:12], v[200:201]
	v_add_f64 v[200:201], v[200:201], -v[11:12]
	v_fma_f64 v[11:12], v[198:199], s[2:3], v[19:20]
	v_add_f64 v[5:6], v[9:10], v[204:205]
	v_lshlrev_b32_e32 v199, 4, v0
	v_lshrrev_b32_e32 v0, 4, v120
	ds_store_b128 v199, v[80:83]
	ds_store_b128 v199, v[143:146] offset:256
	ds_store_b128 v199, v[135:138] offset:512
	;; [unrolled: 1-line block ×6, first 2 shown]
	v_mul_u32_u24_e32 v0, 0x70, v0
	s_delay_alu instid0(VALU_DEP_1) | instskip(NEXT) | instid1(VALU_DEP_1)
	v_or_b32_e32 v0, v0, v122
	v_lshlrev_b32_e32 v198, 4, v0
	v_add_f64 v[7:8], v[11:12], v[208:209]
	v_add_f64 v[204:205], v[3:4], v[5:6]
	v_add_f64 v[208:209], v[5:6], -v[3:4]
	s_delay_alu instid0(VALU_DEP_3)
	v_add_f64 v[206:207], v[7:8], -v[1:2]
	v_add_f64 v[210:211], v[1:2], v[7:8]
	v_mad_u64_u32 v[1:2], null, 0x60, v166, s[10:11]
	ds_store_b128 v198, v[123:126]
	ds_store_b128 v198, v[204:207] offset:256
	ds_store_b128 v198, v[159:162] offset:512
	;; [unrolled: 1-line block ×6, first 2 shown]
	s_waitcnt lgkmcnt(0)
	s_barrier
	buffer_gl0_inv
	s_clause 0x1
	global_load_b128 v[80:83], v[1:2], off offset:1760
	global_load_b128 v[124:127], v[1:2], off offset:1776
	ds_load_b128 v[120:123], v167 offset:1792
	ds_load_b128 v[132:135], v167 offset:2688
	s_waitcnt vmcnt(1) lgkmcnt(1)
	v_mul_f64 v[3:4], v[122:123], v[82:83]
	v_mul_f64 v[5:6], v[120:121], v[82:83]
	s_delay_alu instid0(VALU_DEP_2) | instskip(NEXT) | instid1(VALU_DEP_2)
	v_fma_f64 v[230:231], v[120:121], v[80:81], -v[3:4]
	v_fma_f64 v[228:229], v[122:123], v[80:81], v[5:6]
	ds_load_b128 v[120:123], v167 offset:3584
	ds_load_b128 v[140:143], v167 offset:4480
	s_waitcnt vmcnt(0) lgkmcnt(1)
	v_mul_f64 v[7:8], v[122:123], v[126:127]
	v_mul_f64 v[9:10], v[120:121], v[126:127]
	s_delay_alu instid0(VALU_DEP_2) | instskip(NEXT) | instid1(VALU_DEP_2)
	v_fma_f64 v[23:24], v[120:121], v[124:125], -v[7:8]
	v_fma_f64 v[9:10], v[122:123], v[124:125], v[9:10]
	s_clause 0x1
	global_load_b128 v[128:131], v[1:2], off offset:1792
	global_load_b128 v[120:123], v[1:2], off offset:1808
	ds_load_b128 v[136:139], v167 offset:5376
	ds_load_b128 v[156:159], v167 offset:6272
	s_waitcnt vmcnt(1) lgkmcnt(1)
	v_mul_f64 v[11:12], v[138:139], v[130:131]
	v_mul_f64 v[13:14], v[136:137], v[130:131]
	s_delay_alu instid0(VALU_DEP_2) | instskip(NEXT) | instid1(VALU_DEP_2)
	v_fma_f64 v[11:12], v[136:137], v[128:129], -v[11:12]
	v_fma_f64 v[13:14], v[138:139], v[128:129], v[13:14]
	ds_load_b128 v[136:139], v167 offset:7168
	ds_load_b128 v[160:163], v167 offset:8064
	s_waitcnt vmcnt(0) lgkmcnt(1)
	v_mul_f64 v[15:16], v[138:139], v[122:123]
	v_mul_f64 v[17:18], v[136:137], v[122:123]
	s_delay_alu instid0(VALU_DEP_2) | instskip(NEXT) | instid1(VALU_DEP_2)
	v_fma_f64 v[15:16], v[136:137], v[120:121], -v[15:16]
	v_fma_f64 v[17:18], v[138:139], v[120:121], v[17:18]
	s_clause 0x1
	global_load_b128 v[136:139], v[1:2], off offset:1824
	global_load_b128 v[144:147], v[1:2], off offset:1840
	ds_load_b128 v[148:151], v167 offset:8960
	ds_load_b128 v[200:203], v167 offset:9856
	v_add_co_u32 v1, vcc_lo, 0x1500, v1
	v_add_co_ci_u32_e32 v2, vcc_lo, 0, v2, vcc_lo
	v_add_f64 v[218:219], v[11:12], v[15:16]
	v_add_f64 v[224:225], v[13:14], v[17:18]
	v_add_f64 v[11:12], v[15:16], -v[11:12]
	v_add_f64 v[13:14], v[17:18], -v[13:14]
	s_waitcnt vmcnt(1) lgkmcnt(1)
	v_mul_f64 v[19:20], v[150:151], v[138:139]
	v_mul_f64 v[21:22], v[148:149], v[138:139]
	s_delay_alu instid0(VALU_DEP_2) | instskip(NEXT) | instid1(VALU_DEP_2)
	v_fma_f64 v[19:20], v[148:149], v[136:137], -v[19:20]
	v_fma_f64 v[21:22], v[150:151], v[136:137], v[21:22]
	ds_load_b128 v[148:151], v167 offset:10752
	ds_load_b128 v[204:207], v167 offset:11648
	s_waitcnt vmcnt(0) lgkmcnt(1)
	v_mul_f64 v[152:153], v[150:151], v[146:147]
	v_add_f64 v[222:223], v[9:10], v[21:22]
	v_add_f64 v[9:10], v[9:10], -v[21:22]
	s_delay_alu instid0(VALU_DEP_3) | instskip(SKIP_1) | instid1(VALU_DEP_2)
	v_fma_f64 v[208:209], v[148:149], v[144:145], -v[152:153]
	v_mul_f64 v[148:149], v[148:149], v[146:147]
	v_add_f64 v[216:217], v[230:231], v[208:209]
	s_delay_alu instid0(VALU_DEP_2)
	v_fma_f64 v[210:211], v[150:151], v[144:145], v[148:149]
	s_clause 0x1
	global_load_b128 v[152:155], v[1:2], off offset:1760
	global_load_b128 v[148:151], v[1:2], off offset:1776
	v_add_f64 v[15:16], v[230:231], -v[208:209]
	v_add_f64 v[220:221], v[228:229], v[210:211]
	v_add_f64 v[17:18], v[228:229], -v[210:211]
	v_add_f64 v[228:229], v[224:225], -v[222:223]
	s_delay_alu instid0(VALU_DEP_3) | instskip(SKIP_3) | instid1(VALU_DEP_1)
	v_add_f64 v[192:193], v[222:223], -v[220:221]
	v_add_f64 v[38:39], v[220:221], -v[224:225]
	s_waitcnt vmcnt(1)
	v_mul_f64 v[212:213], v[134:135], v[154:155]
	v_fma_f64 v[232:233], v[132:133], v[152:153], -v[212:213]
	v_mul_f64 v[132:133], v[132:133], v[154:155]
	s_delay_alu instid0(VALU_DEP_1) | instskip(SKIP_2) | instid1(VALU_DEP_1)
	v_fma_f64 v[234:235], v[134:135], v[152:153], v[132:133]
	s_waitcnt vmcnt(0)
	v_mul_f64 v[132:133], v[142:143], v[150:151]
	v_fma_f64 v[236:237], v[140:141], v[148:149], -v[132:133]
	v_mul_f64 v[132:133], v[140:141], v[150:151]
	s_delay_alu instid0(VALU_DEP_1)
	v_fma_f64 v[238:239], v[142:143], v[148:149], v[132:133]
	s_clause 0x1
	global_load_b128 v[140:143], v[1:2], off offset:1792
	global_load_b128 v[132:135], v[1:2], off offset:1808
	s_waitcnt vmcnt(1)
	v_mul_f64 v[212:213], v[158:159], v[142:143]
	s_delay_alu instid0(VALU_DEP_1) | instskip(SKIP_3) | instid1(VALU_DEP_3)
	v_fma_f64 v[240:241], v[156:157], v[140:141], -v[212:213]
	v_mul_f64 v[156:157], v[156:157], v[142:143]
	v_add_f64 v[212:213], v[23:24], v[19:20]
	v_add_f64 v[19:20], v[23:24], -v[19:20]
	v_fma_f64 v[242:243], v[158:159], v[140:141], v[156:157]
	s_waitcnt vmcnt(0)
	v_mul_f64 v[156:157], v[162:163], v[134:135]
	s_delay_alu instid0(VALU_DEP_3)
	v_add_f64 v[210:211], v[11:12], -v[19:20]
	v_add_f64 v[21:22], v[212:213], -v[216:217]
	;; [unrolled: 1-line block ×3, first 2 shown]
	v_add_f64 v[208:209], v[11:12], v[19:20]
	v_add_f64 v[19:20], v[19:20], -v[15:16]
	v_fma_f64 v[244:245], v[160:161], v[132:133], -v[156:157]
	v_mul_f64 v[156:157], v[160:161], v[134:135]
	v_mul_f64 v[30:31], v[210:211], s[18:19]
	;; [unrolled: 1-line block ×3, first 2 shown]
	v_add_f64 v[230:231], v[208:209], v[15:16]
	v_mul_f64 v[208:209], v[23:24], s[2:3]
	v_add_f64 v[15:16], v[15:16], -v[11:12]
	v_mul_f64 v[11:12], v[19:20], s[12:13]
	v_add_f64 v[32:33], v[240:241], v[244:245]
	v_fma_f64 v[246:247], v[162:163], v[132:133], v[156:157]
	s_clause 0x1
	global_load_b128 v[156:159], v[1:2], off offset:1824
	global_load_b128 v[160:163], v[1:2], off offset:1840
	v_fma_f64 v[210:211], v[192:193], s[16:17], -v[210:211]
	v_fma_f64 v[208:209], v[21:22], s[16:17], -v[208:209]
	v_add_f64 v[164:165], v[242:243], v[246:247]
	s_waitcnt vmcnt(1)
	v_mul_f64 v[1:2], v[202:203], v[158:159]
	s_delay_alu instid0(VALU_DEP_1) | instskip(SKIP_1) | instid1(VALU_DEP_2)
	v_fma_f64 v[36:37], v[200:201], v[156:157], -v[1:2]
	v_mul_f64 v[200:201], v[200:201], v[158:159]
	v_add_f64 v[6:7], v[236:237], v[36:37]
	s_delay_alu instid0(VALU_DEP_2) | instskip(SKIP_2) | instid1(VALU_DEP_2)
	v_fma_f64 v[248:249], v[202:203], v[156:157], v[200:201]
	s_waitcnt vmcnt(0) lgkmcnt(0)
	v_mul_f64 v[200:201], v[206:207], v[162:163]
	v_add_f64 v[25:26], v[238:239], v[248:249]
	s_delay_alu instid0(VALU_DEP_2) | instskip(SKIP_1) | instid1(VALU_DEP_2)
	v_fma_f64 v[250:251], v[204:205], v[160:161], -v[200:201]
	v_mul_f64 v[200:201], v[204:205], v[162:163]
	v_add_f64 v[254:255], v[232:233], v[250:251]
	s_delay_alu instid0(VALU_DEP_2) | instskip(SKIP_2) | instid1(VALU_DEP_4)
	v_fma_f64 v[252:253], v[206:207], v[160:161], v[200:201]
	v_add_f64 v[200:201], v[212:213], v[216:217]
	v_add_f64 v[212:213], v[13:14], v[9:10]
	;; [unrolled: 1-line block ×3, first 2 shown]
	s_delay_alu instid0(VALU_DEP_4) | instskip(NEXT) | instid1(VALU_DEP_4)
	v_add_f64 v[27:28], v[234:235], v[252:253]
	v_add_f64 v[214:215], v[218:219], v[200:201]
	;; [unrolled: 1-line block ×4, first 2 shown]
	v_fma_f64 v[212:213], v[19:20], s[8:9], -v[30:31]
	v_add_f64 v[222:223], v[13:14], -v[9:10]
	v_add_f64 v[9:10], v[9:10], -v[17:18]
	;; [unrolled: 1-line block ×3, first 2 shown]
	v_mul_f64 v[17:18], v[38:39], s[24:25]
	v_add_f64 v[195:196], v[32:33], v[195:196]
	v_add_f64 v[190:191], v[25:26], v[27:28]
	;; [unrolled: 1-line block ×3, first 2 shown]
	ds_load_b128 v[200:203], v167
	ds_load_b128 v[204:207], v167 offset:896
	v_mul_f64 v[222:223], v[222:223], s[18:19]
	s_waitcnt lgkmcnt(1)
	v_add_f64 v[200:201], v[200:201], v[214:215]
	s_waitcnt lgkmcnt(0)
	v_add_f64 v[204:205], v[204:205], v[195:196]
	v_add_f64 v[190:191], v[164:165], v[190:191]
	;; [unrolled: 1-line block ×3, first 2 shown]
	s_delay_alu instid0(VALU_DEP_4)
	v_fma_f64 v[2:3], v[214:215], s[14:15], v[200:201]
	v_fma_f64 v[214:215], v[230:231], s[20:21], v[212:213]
	v_fma_f64 v[212:213], v[9:10], s[8:9], -v[222:223]
	v_mul_f64 v[8:9], v[9:10], s[12:13]
	v_fma_f64 v[10:11], v[15:16], s[22:23], v[11:12]
	v_fma_f64 v[15:16], v[15:16], s[28:29], v[30:31]
	;; [unrolled: 1-line block ×3, first 2 shown]
	v_add_f64 v[206:207], v[206:207], v[190:191]
	v_fma_f64 v[34:35], v[226:227], s[14:15], v[202:203]
	v_add_f64 v[226:227], v[208:209], v[2:3]
	v_fma_f64 v[212:213], v[4:5], s[20:21], v[212:213]
	v_fma_f64 v[8:9], v[13:14], s[22:23], v[8:9]
	;; [unrolled: 1-line block ×6, first 2 shown]
	v_add_f64 v[0:1], v[210:211], v[34:35]
	v_add_f64 v[208:209], v[226:227], -v[212:213]
	v_fma_f64 v[8:9], v[4:5], s[20:21], v[8:9]
	v_fma_f64 v[4:5], v[4:5], s[20:21], v[13:14]
	v_add_f64 v[212:213], v[212:213], v[226:227]
	v_add_f64 v[13:14], v[238:239], -v[248:249]
	v_add_f64 v[210:211], v[214:215], v[0:1]
	v_add_f64 v[214:215], v[0:1], -v[214:215]
	v_add_f64 v[0:1], v[216:217], -v[218:219]
	s_delay_alu instid0(VALU_DEP_1) | instskip(NEXT) | instid1(VALU_DEP_1)
	v_mul_f64 v[0:1], v[0:1], s[24:25]
	v_fma_f64 v[19:20], v[21:22], s[26:27], -v[0:1]
	v_fma_f64 v[21:22], v[192:193], s[26:27], -v[17:18]
	v_fma_f64 v[0:1], v[23:24], s[2:3], v[0:1]
	v_fma_f64 v[17:18], v[228:229], s[2:3], v[17:18]
	v_add_f64 v[23:24], v[164:165], -v[25:26]
	v_add_f64 v[19:20], v[19:20], v[2:3]
	v_add_f64 v[21:22], v[21:22], v[34:35]
	;; [unrolled: 1-line block ×4, first 2 shown]
	v_add_f64 v[17:18], v[234:235], -v[252:253]
	v_mul_f64 v[192:193], v[23:24], s[2:3]
	v_add_f64 v[216:217], v[8:9], v[19:20]
	v_add_f64 v[218:219], v[21:22], -v[11:12]
	v_add_f64 v[224:225], v[4:5], v[0:1]
	v_add_f64 v[226:227], v[2:3], -v[15:16]
	v_add_f64 v[228:229], v[0:1], -v[4:5]
	v_add_f64 v[230:231], v[15:16], v[2:3]
	v_add_f64 v[0:1], v[236:237], -v[36:37]
	v_add_f64 v[2:3], v[244:245], -v[240:241]
	;; [unrolled: 1-line block ×4, first 2 shown]
	v_add_f64 v[11:12], v[11:12], v[21:22]
	v_add_f64 v[21:22], v[25:26], -v[27:28]
	v_add_f64 v[27:28], v[27:28], -v[164:165]
	;; [unrolled: 1-line block ×7, first 2 shown]
	v_add_f64 v[25:26], v[2:3], v[0:1]
	v_add_f64 v[0:1], v[0:1], -v[4:5]
	v_add_f64 v[34:35], v[15:16], v[13:14]
	v_add_f64 v[36:37], v[15:16], -v[13:14]
	v_add_f64 v[13:14], v[13:14], -v[17:18]
	;; [unrolled: 1-line block ×3, first 2 shown]
	v_fma_f64 v[192:193], v[21:22], s[16:17], -v[192:193]
	v_mul_f64 v[38:39], v[6:7], s[2:3]
	v_mul_f64 v[30:31], v[30:31], s[18:19]
	v_add_f64 v[25:26], v[25:26], v[4:5]
	v_add_f64 v[4:5], v[17:18], -v[15:16]
	v_add_f64 v[34:35], v[34:35], v[17:18]
	v_mul_f64 v[17:18], v[27:28], s[24:25]
	v_mul_f64 v[36:37], v[36:37], s[18:19]
	;; [unrolled: 1-line block ×3, first 2 shown]
	v_add_f64 v[192:193], v[192:193], v[190:191]
	v_fma_f64 v[38:39], v[19:20], s[16:17], -v[38:39]
	s_mov_b32 s19, 0x3fe11646
	v_fma_f64 v[220:221], v[0:1], s[8:9], -v[30:31]
	v_mul_f64 v[0:1], v[0:1], s[12:13]
	v_fma_f64 v[21:22], v[21:22], s[26:27], -v[17:18]
	v_fma_f64 v[222:223], v[13:14], s[8:9], -v[36:37]
	v_mul_f64 v[13:14], v[13:14], s[12:13]
	v_fma_f64 v[19:20], v[19:20], s[26:27], -v[15:16]
	v_add_f64 v[38:39], v[38:39], v[195:196]
	v_fma_f64 v[220:221], v[25:26], s[20:21], v[220:221]
	v_fma_f64 v[0:1], v[2:3], s[22:23], v[0:1]
	v_add_f64 v[21:22], v[21:22], v[190:191]
	v_fma_f64 v[222:223], v[34:35], s[20:21], v[222:223]
	v_fma_f64 v[13:14], v[4:5], s[22:23], v[13:14]
	v_add_f64 v[19:20], v[19:20], v[195:196]
	v_add_f64 v[234:235], v[220:221], v[192:193]
	v_fma_f64 v[0:1], v[25:26], s[20:21], v[0:1]
	v_add_f64 v[238:239], v[192:193], -v[220:221]
	v_add_f64 v[232:233], v[38:39], -v[222:223]
	v_fma_f64 v[13:14], v[34:35], s[20:21], v[13:14]
	v_add_f64 v[236:237], v[222:223], v[38:39]
	v_add_f64 v[242:243], v[21:22], -v[0:1]
	v_add_f64 v[246:247], v[0:1], v[21:22]
	v_fma_f64 v[0:1], v[2:3], s[28:29], v[30:31]
	v_fma_f64 v[2:3], v[4:5], s[28:29], v[36:37]
	;; [unrolled: 1-line block ×4, first 2 shown]
	v_add_f64 v[240:241], v[13:14], v[19:20]
	v_add_f64 v[244:245], v[19:20], -v[13:14]
	v_fma_f64 v[0:1], v[25:26], s[20:21], v[0:1]
	v_fma_f64 v[2:3], v[34:35], s[20:21], v[2:3]
	v_add_f64 v[4:5], v[4:5], v[195:196]
	v_add_f64 v[6:7], v[6:7], v[190:191]
	s_mov_b32 s21, 0xbfdc38aa
	s_delay_alu instid0(VALU_DEP_2) | instskip(NEXT) | instid1(VALU_DEP_2)
	v_add_f64 v[248:249], v[2:3], v[4:5]
	v_add_f64 v[250:251], v[6:7], -v[0:1]
	v_add_f64 v[252:253], v[4:5], -v[2:3]
	v_add_f64 v[254:255], v[0:1], v[6:7]
	ds_store_b128 v167, v[200:203]
	ds_store_b128 v167, v[204:207] offset:896
	ds_store_b128 v167, v[224:227] offset:1792
	ds_store_b128 v167, v[248:251] offset:2688
	ds_store_b128 v167, v[216:219] offset:3584
	ds_store_b128 v167, v[240:243] offset:4480
	ds_store_b128 v167, v[208:211] offset:5376
	ds_store_b128 v167, v[232:235] offset:6272
	ds_store_b128 v167, v[212:215] offset:7168
	ds_store_b128 v167, v[236:239] offset:8064
	ds_store_b128 v167, v[9:12] offset:8960
	ds_store_b128 v167, v[244:247] offset:9856
	ds_store_b128 v167, v[228:231] offset:10752
	ds_store_b128 v167, v[252:255] offset:11648
	s_waitcnt lgkmcnt(0)
	s_barrier
	buffer_gl0_inv
	s_clause 0x1
	global_load_b128 v[200:203], v167, s[30:31]
	global_load_b128 v[208:211], v167, s[30:31] offset:896
	v_add_co_u32 v4, s10, s30, v167
	s_delay_alu instid0(VALU_DEP_1)
	v_add_co_ci_u32_e64 v5, null, s31, 0, s10
	ds_load_b128 v[204:207], v167
	ds_load_b128 v[212:215], v167 offset:896
	v_add_co_u32 v8, vcc_lo, 0x1000, v4
	v_add_co_ci_u32_e32 v9, vcc_lo, 0, v5, vcc_lo
	ds_load_b128 v[220:223], v167 offset:6272
	ds_load_b128 v[228:231], v167 offset:5376
	v_add_co_u32 v12, vcc_lo, 0x2000, v4
	s_clause 0x1
	global_load_b128 v[216:219], v[8:9], off offset:2176
	global_load_b128 v[224:227], v[8:9], off offset:3968
	v_add_co_ci_u32_e32 v13, vcc_lo, 0, v5, vcc_lo
	s_waitcnt vmcnt(3) lgkmcnt(3)
	v_mul_f64 v[0:1], v[206:207], v[202:203]
	v_mul_f64 v[2:3], v[204:205], v[202:203]
	s_delay_alu instid0(VALU_DEP_2) | instskip(SKIP_2) | instid1(VALU_DEP_3)
	v_fma_f64 v[202:203], v[204:205], v[200:201], -v[0:1]
	s_waitcnt vmcnt(1) lgkmcnt(1)
	v_mul_f64 v[0:1], v[222:223], v[218:219]
	v_fma_f64 v[204:205], v[206:207], v[200:201], v[2:3]
	v_mul_f64 v[2:3], v[220:221], v[218:219]
	s_delay_alu instid0(VALU_DEP_3) | instskip(SKIP_1) | instid1(VALU_DEP_3)
	v_fma_f64 v[218:219], v[220:221], v[216:217], -v[0:1]
	v_mul_f64 v[0:1], v[214:215], v[210:211]
	v_fma_f64 v[220:221], v[222:223], v[216:217], v[2:3]
	v_mul_f64 v[2:3], v[212:213], v[210:211]
	s_delay_alu instid0(VALU_DEP_3)
	v_fma_f64 v[206:207], v[212:213], v[208:209], -v[0:1]
	scratch_load_b32 v0, off, off offset:84 ; 4-byte Folded Reload
	v_fma_f64 v[208:209], v[214:215], v[208:209], v[2:3]
	s_waitcnt vmcnt(0)
	global_load_b128 v[210:213], v0, s[30:31]
	ds_load_b128 v[214:217], v167 offset:7168
	ds_load_b128 v[232:235], v167 offset:8064
	s_clause 0x2
	global_load_b128 v[236:239], v167, s[30:31] offset:3584
	global_load_b128 v[240:243], v167, s[30:31] offset:1792
	;; [unrolled: 1-line block ×3, first 2 shown]
	ds_load_b128 v[248:251], v167 offset:1792
	ds_load_b128 v[252:255], v167 offset:2688
	s_waitcnt vmcnt(3) lgkmcnt(3)
	v_mul_f64 v[0:1], v[216:217], v[212:213]
	v_mul_f64 v[2:3], v[214:215], v[212:213]
	s_delay_alu instid0(VALU_DEP_2) | instskip(NEXT) | instid1(VALU_DEP_2)
	v_fma_f64 v[212:213], v[214:215], v[210:211], -v[0:1]
	v_fma_f64 v[214:215], v[216:217], v[210:211], v[2:3]
	s_waitcnt vmcnt(1) lgkmcnt(1)
	v_mul_f64 v[0:1], v[250:251], v[242:243]
	v_mul_f64 v[2:3], v[248:249], v[242:243]
	s_delay_alu instid0(VALU_DEP_2) | instskip(NEXT) | instid1(VALU_DEP_2)
	v_fma_f64 v[248:249], v[248:249], v[240:241], -v[0:1]
	v_fma_f64 v[250:251], v[250:251], v[240:241], v[2:3]
	v_mul_f64 v[0:1], v[234:235], v[226:227]
	v_mul_f64 v[2:3], v[232:233], v[226:227]
	s_delay_alu instid0(VALU_DEP_2) | instskip(NEXT) | instid1(VALU_DEP_2)
	v_fma_f64 v[222:223], v[232:233], v[224:225], -v[0:1]
	v_fma_f64 v[224:225], v[234:235], v[224:225], v[2:3]
	s_waitcnt vmcnt(0) lgkmcnt(0)
	v_mul_f64 v[0:1], v[254:255], v[246:247]
	v_mul_f64 v[2:3], v[252:253], v[246:247]
	s_delay_alu instid0(VALU_DEP_2) | instskip(NEXT) | instid1(VALU_DEP_2)
	v_fma_f64 v[232:233], v[252:253], v[244:245], -v[0:1]
	v_fma_f64 v[234:235], v[254:255], v[244:245], v[2:3]
	s_clause 0x1
	global_load_b128 v[240:243], v[12:13], off offset:768
	global_load_b128 v[244:247], v[12:13], off offset:1664
	ds_load_b128 v[252:255], v167 offset:8960
	ds_load_b128 v[0:3], v167 offset:9856
	s_waitcnt vmcnt(1) lgkmcnt(1)
	v_mul_f64 v[4:5], v[254:255], v[242:243]
	v_mul_f64 v[6:7], v[252:253], v[242:243]
	s_delay_alu instid0(VALU_DEP_2) | instskip(NEXT) | instid1(VALU_DEP_2)
	v_fma_f64 v[252:253], v[252:253], v[240:241], -v[4:5]
	v_fma_f64 v[254:255], v[254:255], v[240:241], v[6:7]
	ds_load_b128 v[240:243], v167 offset:3584
	ds_load_b128 v[4:7], v167 offset:4480
	s_waitcnt lgkmcnt(1)
	v_mul_f64 v[10:11], v[242:243], v[238:239]
	v_mul_f64 v[14:15], v[240:241], v[238:239]
	s_delay_alu instid0(VALU_DEP_2) | instskip(NEXT) | instid1(VALU_DEP_2)
	v_fma_f64 v[238:239], v[240:241], v[236:237], -v[10:11]
	v_fma_f64 v[240:241], v[242:243], v[236:237], v[14:15]
	s_waitcnt vmcnt(0)
	v_mul_f64 v[10:11], v[2:3], v[246:247]
	v_mul_f64 v[14:15], v[0:1], v[246:247]
	s_delay_alu instid0(VALU_DEP_2) | instskip(NEXT) | instid1(VALU_DEP_2)
	v_fma_f64 v[20:21], v[0:1], v[244:245], -v[10:11]
	v_fma_f64 v[22:23], v[2:3], v[244:245], v[14:15]
	s_clause 0x1
	global_load_b128 v[242:245], v[8:9], off offset:384
	global_load_b128 v[8:11], v[8:9], off offset:1280
	s_waitcnt vmcnt(1) lgkmcnt(0)
	v_mul_f64 v[0:1], v[6:7], v[244:245]
	v_mul_f64 v[2:3], v[4:5], v[244:245]
	s_delay_alu instid0(VALU_DEP_2) | instskip(NEXT) | instid1(VALU_DEP_2)
	v_fma_f64 v[16:17], v[4:5], v[242:243], -v[0:1]
	v_fma_f64 v[18:19], v[6:7], v[242:243], v[2:3]
	s_clause 0x1
	global_load_b128 v[242:245], v[12:13], off offset:2560
	global_load_b128 v[12:15], v[12:13], off offset:3456
	ds_load_b128 v[0:3], v167 offset:10752
	ds_load_b128 v[4:7], v167 offset:11648
	s_waitcnt vmcnt(1) lgkmcnt(1)
	v_mul_f64 v[24:25], v[2:3], v[244:245]
	v_mul_f64 v[26:27], v[0:1], v[244:245]
	s_delay_alu instid0(VALU_DEP_2) | instskip(SKIP_2) | instid1(VALU_DEP_4)
	v_fma_f64 v[0:1], v[0:1], v[242:243], -v[24:25]
	v_mul_f64 v[24:25], v[230:231], v[10:11]
	v_mul_f64 v[10:11], v[228:229], v[10:11]
	v_fma_f64 v[2:3], v[2:3], v[242:243], v[26:27]
	s_delay_alu instid0(VALU_DEP_3) | instskip(NEXT) | instid1(VALU_DEP_3)
	v_fma_f64 v[226:227], v[228:229], v[8:9], -v[24:25]
	v_fma_f64 v[228:229], v[230:231], v[8:9], v[10:11]
	s_waitcnt vmcnt(0) lgkmcnt(0)
	v_mul_f64 v[8:9], v[6:7], v[14:15]
	v_mul_f64 v[10:11], v[4:5], v[14:15]
	s_delay_alu instid0(VALU_DEP_2) | instskip(NEXT) | instid1(VALU_DEP_2)
	v_fma_f64 v[4:5], v[4:5], v[12:13], -v[8:9]
	v_fma_f64 v[6:7], v[6:7], v[12:13], v[10:11]
	ds_store_b128 v167, v[202:205]
	ds_store_b128 v167, v[206:209] offset:896
	ds_store_b128 v167, v[212:215] offset:7168
	ds_store_b128 v167, v[222:225] offset:8064
	ds_store_b128 v167, v[248:251] offset:1792
	ds_store_b128 v167, v[232:235] offset:2688
	ds_store_b128 v167, v[252:255] offset:8960
	ds_store_b128 v167, v[20:23] offset:9856
	ds_store_b128 v167, v[238:241] offset:3584
	ds_store_b128 v167, v[16:19] offset:4480
	ds_store_b128 v167, v[218:221] offset:6272
	ds_store_b128 v167, v[226:229] offset:5376
	ds_store_b128 v167, v[0:3] offset:10752
	ds_store_b128 v167, v[4:7] offset:11648
	s_waitcnt lgkmcnt(0)
	s_barrier
	buffer_gl0_inv
	ds_load_b128 v[0:3], v167 offset:6272
	ds_load_b128 v[4:7], v167
	ds_load_b128 v[8:11], v167 offset:896
	ds_load_b128 v[12:15], v167 offset:5376
	;; [unrolled: 1-line block ×12, first 2 shown]
	s_waitcnt lgkmcnt(0)
	s_barrier
	buffer_gl0_inv
	v_add_f64 v[0:1], v[4:5], -v[0:1]
	v_add_f64 v[2:3], v[6:7], -v[2:3]
	;; [unrolled: 1-line block ×4, first 2 shown]
	s_delay_alu instid0(VALU_DEP_4) | instskip(NEXT) | instid1(VALU_DEP_4)
	v_fma_f64 v[4:5], v[4:5], 2.0, -v[0:1]
	v_fma_f64 v[6:7], v[6:7], 2.0, -v[2:3]
	s_delay_alu instid0(VALU_DEP_4) | instskip(NEXT) | instid1(VALU_DEP_4)
	v_fma_f64 v[8:9], v[8:9], 2.0, -v[16:17]
	v_fma_f64 v[10:11], v[10:11], 2.0, -v[18:19]
	ds_store_b128 v29, v[0:3] offset:16
	ds_store_b128 v29, v[4:7]
	ds_store_b128 v29, v[8:11] offset:1792
	s_clause 0x1
	scratch_load_b32 v0, off, off offset:108
	scratch_load_b32 v8, off, off offset:104
	v_add_f64 v[2:3], v[202:203], -v[22:23]
	s_delay_alu instid0(VALU_DEP_1) | instskip(SKIP_3) | instid1(VALU_DEP_1)
	v_fma_f64 v[6:7], v[202:203], 2.0, -v[2:3]
	s_waitcnt vmcnt(1)
	ds_store_b128 v0, v[16:19] offset:16
	v_add_f64 v[0:1], v[200:201], -v[20:21]
	v_fma_f64 v[4:5], v[200:201], 2.0, -v[0:1]
	ds_store_b128 v169, v[4:7] offset:3584
	scratch_load_b32 v4, off, off offset:100 ; 4-byte Folded Reload
	s_waitcnt vmcnt(1)
	ds_store_b128 v8, v[0:3] offset:16
	v_add_f64 v[0:1], v[204:205], -v[208:209]
	v_add_f64 v[2:3], v[206:207], -v[210:211]
	s_delay_alu instid0(VALU_DEP_2) | instskip(NEXT) | instid1(VALU_DEP_2)
	v_fma_f64 v[8:9], v[204:205], 2.0, -v[0:1]
	v_fma_f64 v[10:11], v[206:207], 2.0, -v[2:3]
	ds_store_b128 v169, v[8:11] offset:5376
	scratch_load_b32 v8, off, off offset:96 ; 4-byte Folded Reload
	s_waitcnt vmcnt(1)
	ds_store_b128 v4, v[0:3] offset:16
	v_add_f64 v[0:1], v[216:217], -v[212:213]
	v_add_f64 v[2:3], v[218:219], -v[214:215]
	s_delay_alu instid0(VALU_DEP_2) | instskip(NEXT) | instid1(VALU_DEP_2)
	v_fma_f64 v[4:5], v[216:217], 2.0, -v[0:1]
	;; [unrolled: 9-line block ×3, first 2 shown]
	v_fma_f64 v[10:11], v[222:223], 2.0, -v[2:3]
	s_waitcnt vmcnt(0)
	ds_store_b128 v4, v[0:3] offset:16
	v_add_f64 v[0:1], v[12:13], -v[228:229]
	v_add_f64 v[2:3], v[14:15], -v[230:231]
	s_delay_alu instid0(VALU_DEP_2) | instskip(NEXT) | instid1(VALU_DEP_2)
	v_fma_f64 v[4:5], v[12:13], 2.0, -v[0:1]
	v_fma_f64 v[6:7], v[14:15], 2.0, -v[2:3]
	ds_store_b128 v169, v[8:11] offset:8960
	ds_store_b128 v169, v[4:7] offset:10752
	scratch_load_b32 v4, off, off offset:88 ; 4-byte Folded Reload
	s_waitcnt vmcnt(0)
	ds_store_b128 v4, v[0:3] offset:16
	s_waitcnt lgkmcnt(0)
	s_barrier
	buffer_gl0_inv
	ds_load_b128 v[0:3], v167 offset:6272
	ds_load_b128 v[4:7], v167 offset:5376
	s_waitcnt lgkmcnt(1)
	v_mul_f64 v[8:9], v[58:59], v[2:3]
	s_delay_alu instid0(VALU_DEP_1) | instskip(SKIP_1) | instid1(VALU_DEP_1)
	v_fma_f64 v[12:13], v[56:57], v[0:1], v[8:9]
	v_mul_f64 v[0:1], v[58:59], v[0:1]
	v_fma_f64 v[14:15], v[56:57], v[2:3], -v[0:1]
	ds_load_b128 v[0:3], v167 offset:7168
	ds_load_b128 v[8:11], v167 offset:8064
	s_waitcnt lgkmcnt(1)
	v_mul_f64 v[16:17], v[58:59], v[2:3]
	s_delay_alu instid0(VALU_DEP_1) | instskip(SKIP_1) | instid1(VALU_DEP_1)
	v_fma_f64 v[24:25], v[56:57], v[0:1], v[16:17]
	v_mul_f64 v[0:1], v[58:59], v[0:1]
	v_fma_f64 v[26:27], v[56:57], v[2:3], -v[0:1]
	s_waitcnt lgkmcnt(0)
	v_mul_f64 v[0:1], v[58:59], v[10:11]
	s_delay_alu instid0(VALU_DEP_1) | instskip(SKIP_1) | instid1(VALU_DEP_1)
	v_fma_f64 v[28:29], v[56:57], v[8:9], v[0:1]
	v_mul_f64 v[0:1], v[58:59], v[8:9]
	v_fma_f64 v[30:31], v[56:57], v[10:11], -v[0:1]
	ds_load_b128 v[0:3], v167 offset:8960
	ds_load_b128 v[8:11], v167 offset:9856
	s_waitcnt lgkmcnt(1)
	v_mul_f64 v[16:17], v[58:59], v[2:3]
	s_delay_alu instid0(VALU_DEP_1) | instskip(SKIP_1) | instid1(VALU_DEP_1)
	v_fma_f64 v[32:33], v[56:57], v[0:1], v[16:17]
	v_mul_f64 v[0:1], v[58:59], v[0:1]
	v_fma_f64 v[34:35], v[56:57], v[2:3], -v[0:1]
	;; [unrolled: 14-line block ×3, first 2 shown]
	s_waitcnt lgkmcnt(0)
	v_mul_f64 v[0:1], v[58:59], v[10:11]
	s_delay_alu instid0(VALU_DEP_1) | instskip(SKIP_1) | instid1(VALU_DEP_1)
	v_fma_f64 v[192:193], v[56:57], v[8:9], v[0:1]
	v_mul_f64 v[0:1], v[58:59], v[8:9]
	v_fma_f64 v[195:196], v[56:57], v[10:11], -v[0:1]
	ds_load_b128 v[0:3], v167
	ds_load_b128 v[8:11], v167 offset:896
	ds_load_b128 v[16:19], v167 offset:1792
	;; [unrolled: 1-line block ×5, first 2 shown]
	s_waitcnt lgkmcnt(0)
	s_barrier
	buffer_gl0_inv
	scratch_load_b32 v169, off, off offset:136 ; 4-byte Folded Reload
	v_add_f64 v[12:13], v[0:1], -v[12:13]
	v_add_f64 v[14:15], v[2:3], -v[14:15]
	s_delay_alu instid0(VALU_DEP_2) | instskip(NEXT) | instid1(VALU_DEP_2)
	v_fma_f64 v[0:1], v[0:1], 2.0, -v[12:13]
	v_fma_f64 v[2:3], v[2:3], 2.0, -v[14:15]
	s_waitcnt vmcnt(0)
	ds_store_b128 v169, v[12:15] offset:32
	ds_store_b128 v169, v[0:3]
	scratch_load_b32 v12, off, off offset:132 ; 4-byte Folded Reload
	v_add_f64 v[0:1], v[8:9], -v[24:25]
	v_add_f64 v[2:3], v[10:11], -v[26:27]
	s_delay_alu instid0(VALU_DEP_2) | instskip(NEXT) | instid1(VALU_DEP_2)
	v_fma_f64 v[8:9], v[8:9], 2.0, -v[0:1]
	v_fma_f64 v[10:11], v[10:11], 2.0, -v[2:3]
	s_waitcnt vmcnt(0)
	ds_store_b128 v12, v[8:11]
	ds_store_b128 v12, v[0:3] offset:32
	scratch_load_b32 v12, off, off offset:128 ; 4-byte Folded Reload
	v_add_f64 v[0:1], v[16:17], -v[28:29]
	v_add_f64 v[2:3], v[18:19], -v[30:31]
	s_delay_alu instid0(VALU_DEP_2) | instskip(NEXT) | instid1(VALU_DEP_2)
	v_fma_f64 v[8:9], v[16:17], 2.0, -v[0:1]
	v_fma_f64 v[10:11], v[18:19], 2.0, -v[2:3]
	s_waitcnt vmcnt(0)
	ds_store_b128 v12, v[8:11]
	ds_store_b128 v12, v[0:3] offset:32
	;; [unrolled: 9-line block ×6, first 2 shown]
	s_waitcnt lgkmcnt(0)
	s_barrier
	buffer_gl0_inv
	ds_load_b128 v[0:3], v167 offset:6272
	ds_load_b128 v[4:7], v167 offset:5376
	s_waitcnt lgkmcnt(1)
	v_mul_f64 v[8:9], v[62:63], v[2:3]
	s_delay_alu instid0(VALU_DEP_1) | instskip(SKIP_1) | instid1(VALU_DEP_1)
	v_fma_f64 v[12:13], v[60:61], v[0:1], v[8:9]
	v_mul_f64 v[0:1], v[62:63], v[0:1]
	v_fma_f64 v[14:15], v[60:61], v[2:3], -v[0:1]
	ds_load_b128 v[0:3], v167 offset:7168
	ds_load_b128 v[8:11], v167 offset:8064
	s_waitcnt lgkmcnt(1)
	v_mul_f64 v[16:17], v[62:63], v[2:3]
	s_delay_alu instid0(VALU_DEP_1) | instskip(SKIP_1) | instid1(VALU_DEP_1)
	v_fma_f64 v[24:25], v[60:61], v[0:1], v[16:17]
	v_mul_f64 v[0:1], v[62:63], v[0:1]
	v_fma_f64 v[26:27], v[60:61], v[2:3], -v[0:1]
	s_waitcnt lgkmcnt(0)
	v_mul_f64 v[0:1], v[62:63], v[10:11]
	s_delay_alu instid0(VALU_DEP_1) | instskip(SKIP_1) | instid1(VALU_DEP_1)
	v_fma_f64 v[28:29], v[60:61], v[8:9], v[0:1]
	v_mul_f64 v[0:1], v[62:63], v[8:9]
	v_fma_f64 v[30:31], v[60:61], v[10:11], -v[0:1]
	ds_load_b128 v[0:3], v167 offset:8960
	ds_load_b128 v[8:11], v167 offset:9856
	s_waitcnt lgkmcnt(1)
	v_mul_f64 v[16:17], v[62:63], v[2:3]
	s_delay_alu instid0(VALU_DEP_1) | instskip(SKIP_1) | instid1(VALU_DEP_1)
	v_fma_f64 v[32:33], v[60:61], v[0:1], v[16:17]
	v_mul_f64 v[0:1], v[62:63], v[0:1]
	v_fma_f64 v[34:35], v[60:61], v[2:3], -v[0:1]
	;; [unrolled: 14-line block ×3, first 2 shown]
	s_waitcnt lgkmcnt(0)
	v_mul_f64 v[0:1], v[62:63], v[10:11]
	s_delay_alu instid0(VALU_DEP_1) | instskip(SKIP_1) | instid1(VALU_DEP_1)
	v_fma_f64 v[192:193], v[60:61], v[8:9], v[0:1]
	v_mul_f64 v[0:1], v[62:63], v[8:9]
	v_fma_f64 v[195:196], v[60:61], v[10:11], -v[0:1]
	ds_load_b128 v[0:3], v167
	ds_load_b128 v[8:11], v167 offset:896
	ds_load_b128 v[16:19], v167 offset:1792
	;; [unrolled: 1-line block ×5, first 2 shown]
	s_waitcnt lgkmcnt(0)
	s_barrier
	buffer_gl0_inv
	scratch_load_b32 v169, off, off offset:164 ; 4-byte Folded Reload
	v_add_f64 v[12:13], v[0:1], -v[12:13]
	v_add_f64 v[14:15], v[2:3], -v[14:15]
	s_delay_alu instid0(VALU_DEP_2) | instskip(NEXT) | instid1(VALU_DEP_2)
	v_fma_f64 v[0:1], v[0:1], 2.0, -v[12:13]
	v_fma_f64 v[2:3], v[2:3], 2.0, -v[14:15]
	s_waitcnt vmcnt(0)
	ds_store_b128 v169, v[12:15] offset:64
	ds_store_b128 v169, v[0:3]
	scratch_load_b32 v12, off, off offset:160 ; 4-byte Folded Reload
	v_add_f64 v[0:1], v[8:9], -v[24:25]
	v_add_f64 v[2:3], v[10:11], -v[26:27]
	s_delay_alu instid0(VALU_DEP_2) | instskip(NEXT) | instid1(VALU_DEP_2)
	v_fma_f64 v[8:9], v[8:9], 2.0, -v[0:1]
	v_fma_f64 v[10:11], v[10:11], 2.0, -v[2:3]
	s_waitcnt vmcnt(0)
	ds_store_b128 v12, v[8:11]
	ds_store_b128 v12, v[0:3] offset:64
	scratch_load_b32 v12, off, off offset:156 ; 4-byte Folded Reload
	v_add_f64 v[0:1], v[16:17], -v[28:29]
	v_add_f64 v[2:3], v[18:19], -v[30:31]
	s_delay_alu instid0(VALU_DEP_2) | instskip(NEXT) | instid1(VALU_DEP_2)
	v_fma_f64 v[8:9], v[16:17], 2.0, -v[0:1]
	v_fma_f64 v[10:11], v[18:19], 2.0, -v[2:3]
	s_waitcnt vmcnt(0)
	ds_store_b128 v12, v[8:11]
	ds_store_b128 v12, v[0:3] offset:64
	;; [unrolled: 9-line block ×6, first 2 shown]
	s_waitcnt lgkmcnt(0)
	s_barrier
	buffer_gl0_inv
	ds_load_b128 v[0:3], v167 offset:6272
	ds_load_b128 v[4:7], v167 offset:5376
	s_waitcnt lgkmcnt(1)
	v_mul_f64 v[8:9], v[66:67], v[2:3]
	s_delay_alu instid0(VALU_DEP_1) | instskip(SKIP_1) | instid1(VALU_DEP_1)
	v_fma_f64 v[12:13], v[64:65], v[0:1], v[8:9]
	v_mul_f64 v[0:1], v[66:67], v[0:1]
	v_fma_f64 v[14:15], v[64:65], v[2:3], -v[0:1]
	ds_load_b128 v[0:3], v167 offset:7168
	ds_load_b128 v[8:11], v167 offset:8064
	s_waitcnt lgkmcnt(1)
	v_mul_f64 v[16:17], v[66:67], v[2:3]
	s_delay_alu instid0(VALU_DEP_1) | instskip(SKIP_1) | instid1(VALU_DEP_1)
	v_fma_f64 v[24:25], v[64:65], v[0:1], v[16:17]
	v_mul_f64 v[0:1], v[66:67], v[0:1]
	v_fma_f64 v[26:27], v[64:65], v[2:3], -v[0:1]
	s_waitcnt lgkmcnt(0)
	v_mul_f64 v[0:1], v[66:67], v[10:11]
	s_delay_alu instid0(VALU_DEP_1) | instskip(SKIP_1) | instid1(VALU_DEP_1)
	v_fma_f64 v[28:29], v[64:65], v[8:9], v[0:1]
	v_mul_f64 v[0:1], v[66:67], v[8:9]
	v_fma_f64 v[30:31], v[64:65], v[10:11], -v[0:1]
	ds_load_b128 v[0:3], v167 offset:8960
	ds_load_b128 v[8:11], v167 offset:9856
	s_waitcnt lgkmcnt(1)
	v_mul_f64 v[16:17], v[66:67], v[2:3]
	s_delay_alu instid0(VALU_DEP_1) | instskip(SKIP_1) | instid1(VALU_DEP_1)
	v_fma_f64 v[32:33], v[64:65], v[0:1], v[16:17]
	v_mul_f64 v[0:1], v[66:67], v[0:1]
	v_fma_f64 v[34:35], v[64:65], v[2:3], -v[0:1]
	;; [unrolled: 14-line block ×3, first 2 shown]
	s_waitcnt lgkmcnt(0)
	v_mul_f64 v[0:1], v[66:67], v[10:11]
	s_delay_alu instid0(VALU_DEP_1) | instskip(SKIP_1) | instid1(VALU_DEP_1)
	v_fma_f64 v[192:193], v[64:65], v[8:9], v[0:1]
	v_mul_f64 v[0:1], v[66:67], v[8:9]
	v_fma_f64 v[64:65], v[64:65], v[10:11], -v[0:1]
	ds_load_b128 v[0:3], v167
	ds_load_b128 v[8:11], v167 offset:896
	ds_load_b128 v[16:19], v167 offset:1792
	;; [unrolled: 1-line block ×5, first 2 shown]
	s_waitcnt lgkmcnt(0)
	s_barrier
	buffer_gl0_inv
	v_add_f64 v[12:13], v[0:1], -v[12:13]
	v_add_f64 v[14:15], v[2:3], -v[14:15]
	s_delay_alu instid0(VALU_DEP_2) | instskip(NEXT) | instid1(VALU_DEP_2)
	v_fma_f64 v[0:1], v[0:1], 2.0, -v[12:13]
	v_fma_f64 v[2:3], v[2:3], 2.0, -v[14:15]
	ds_store_b128 v168, v[12:15] offset:128
	ds_store_b128 v168, v[0:3]
	v_add_f64 v[0:1], v[8:9], -v[24:25]
	v_add_f64 v[2:3], v[10:11], -v[26:27]
	s_delay_alu instid0(VALU_DEP_2) | instskip(NEXT) | instid1(VALU_DEP_2)
	v_fma_f64 v[8:9], v[8:9], 2.0, -v[0:1]
	v_fma_f64 v[10:11], v[10:11], 2.0, -v[2:3]
	ds_store_b128 v197, v[8:11]
	ds_store_b128 v197, v[0:3] offset:128
	scratch_load_b32 v12, off, off offset:184 ; 4-byte Folded Reload
	v_add_f64 v[0:1], v[16:17], -v[28:29]
	v_add_f64 v[2:3], v[18:19], -v[30:31]
	s_delay_alu instid0(VALU_DEP_2) | instskip(NEXT) | instid1(VALU_DEP_2)
	v_fma_f64 v[8:9], v[16:17], 2.0, -v[0:1]
	v_fma_f64 v[10:11], v[18:19], 2.0, -v[2:3]
	s_waitcnt vmcnt(0)
	ds_store_b128 v12, v[8:11]
	ds_store_b128 v12, v[0:3] offset:128
	scratch_load_b32 v12, off, off offset:180 ; 4-byte Folded Reload
	v_add_f64 v[0:1], v[20:21], -v[32:33]
	v_add_f64 v[2:3], v[22:23], -v[34:35]
	s_delay_alu instid0(VALU_DEP_2) | instskip(NEXT) | instid1(VALU_DEP_2)
	v_fma_f64 v[8:9], v[20:21], 2.0, -v[0:1]
	v_fma_f64 v[10:11], v[22:23], 2.0, -v[2:3]
	s_waitcnt vmcnt(0)
	;; [unrolled: 9-line block ×5, first 2 shown]
	ds_store_b128 v8, v[4:7]
	ds_store_b128 v8, v[0:3] offset:128
	s_waitcnt lgkmcnt(0)
	s_barrier
	buffer_gl0_inv
	ds_load_b128 v[0:3], v167 offset:1792
	ds_load_b128 v[4:7], v167 offset:2688
	s_waitcnt lgkmcnt(1)
	v_mul_f64 v[8:9], v[70:71], v[2:3]
	s_delay_alu instid0(VALU_DEP_1) | instskip(SKIP_1) | instid1(VALU_DEP_1)
	v_fma_f64 v[20:21], v[68:69], v[0:1], v[8:9]
	v_mul_f64 v[0:1], v[70:71], v[0:1]
	v_fma_f64 v[22:23], v[68:69], v[2:3], -v[0:1]
	ds_load_b128 v[0:3], v167 offset:3584
	ds_load_b128 v[8:11], v167 offset:4480
	s_waitcnt lgkmcnt(1)
	v_mul_f64 v[12:13], v[74:75], v[2:3]
	s_delay_alu instid0(VALU_DEP_1) | instskip(SKIP_1) | instid1(VALU_DEP_1)
	v_fma_f64 v[24:25], v[72:73], v[0:1], v[12:13]
	v_mul_f64 v[0:1], v[74:75], v[0:1]
	v_fma_f64 v[26:27], v[72:73], v[2:3], -v[0:1]
	ds_load_b128 v[0:3], v167 offset:10752
	ds_load_b128 v[12:15], v167 offset:11648
	s_waitcnt lgkmcnt(1)
	v_mul_f64 v[16:17], v[90:91], v[2:3]
	s_delay_alu instid0(VALU_DEP_1) | instskip(SKIP_1) | instid1(VALU_DEP_2)
	v_fma_f64 v[28:29], v[88:89], v[0:1], v[16:17]
	v_mul_f64 v[0:1], v[90:91], v[0:1]
	v_add_f64 v[36:37], v[20:21], v[28:29]
	s_delay_alu instid0(VALU_DEP_2)
	v_fma_f64 v[30:31], v[88:89], v[2:3], -v[0:1]
	ds_load_b128 v[0:3], v167 offset:8960
	ds_load_b128 v[16:19], v167 offset:9856
	v_add_f64 v[20:21], v[20:21], -v[28:29]
	s_waitcnt lgkmcnt(1)
	v_mul_f64 v[32:33], v[78:79], v[2:3]
	s_delay_alu instid0(VALU_DEP_1) | instskip(SKIP_1) | instid1(VALU_DEP_1)
	v_fma_f64 v[32:33], v[76:77], v[0:1], v[32:33]
	v_mul_f64 v[0:1], v[78:79], v[0:1]
	v_fma_f64 v[34:35], v[76:77], v[2:3], -v[0:1]
	v_mul_f64 v[0:1], v[106:107], v[6:7]
	s_delay_alu instid0(VALU_DEP_1) | instskip(SKIP_1) | instid1(VALU_DEP_1)
	v_fma_f64 v[58:59], v[104:105], v[4:5], v[0:1]
	v_mul_f64 v[0:1], v[106:107], v[4:5]
	v_fma_f64 v[56:57], v[104:105], v[6:7], -v[0:1]
	;; [unrolled: 5-line block ×4, first 2 shown]
	s_waitcnt lgkmcnt(0)
	v_mul_f64 v[0:1], v[102:103], v[18:19]
	s_delay_alu instid0(VALU_DEP_1) | instskip(SKIP_1) | instid1(VALU_DEP_1)
	v_fma_f64 v[70:71], v[100:101], v[16:17], v[0:1]
	v_mul_f64 v[0:1], v[102:103], v[16:17]
	v_fma_f64 v[68:69], v[100:101], v[18:19], -v[0:1]
	ds_load_b128 v[0:3], v167 offset:5376
	ds_load_b128 v[4:7], v167 offset:6272
	s_waitcnt lgkmcnt(1)
	v_mul_f64 v[8:9], v[94:95], v[2:3]
	s_delay_alu instid0(VALU_DEP_1) | instskip(SKIP_1) | instid1(VALU_DEP_1)
	v_fma_f64 v[12:13], v[92:93], v[0:1], v[8:9]
	v_mul_f64 v[0:1], v[94:95], v[0:1]
	v_fma_f64 v[14:15], v[92:93], v[2:3], -v[0:1]
	ds_load_b128 v[0:3], v167 offset:7168
	ds_load_b128 v[8:11], v167 offset:8064
	s_waitcnt lgkmcnt(1)
	v_mul_f64 v[16:17], v[86:87], v[2:3]
	s_delay_alu instid0(VALU_DEP_1) | instskip(SKIP_2) | instid1(VALU_DEP_3)
	v_fma_f64 v[16:17], v[84:85], v[0:1], v[16:17]
	v_mul_f64 v[0:1], v[86:87], v[0:1]
	v_add_f64 v[86:87], v[26:27], v[34:35]
	v_add_f64 v[38:39], v[12:13], v[16:17]
	s_delay_alu instid0(VALU_DEP_3)
	v_fma_f64 v[18:19], v[84:85], v[2:3], -v[0:1]
	v_mul_f64 v[0:1], v[118:119], v[6:7]
	v_add_f64 v[84:85], v[22:23], v[30:31]
	v_add_f64 v[16:17], v[16:17], -v[12:13]
	v_add_f64 v[12:13], v[26:27], -v[34:35]
	;; [unrolled: 1-line block ×3, first 2 shown]
	v_add_f64 v[88:89], v[14:15], v[18:19]
	v_fma_f64 v[74:75], v[116:117], v[4:5], v[0:1]
	v_mul_f64 v[0:1], v[118:119], v[4:5]
	v_add_f64 v[18:19], v[18:19], -v[14:15]
	v_add_f64 v[30:31], v[12:13], -v[22:23]
	;; [unrolled: 1-line block ×3, first 2 shown]
	s_delay_alu instid0(VALU_DEP_4) | instskip(SKIP_4) | instid1(VALU_DEP_3)
	v_fma_f64 v[72:73], v[116:117], v[6:7], -v[0:1]
	s_waitcnt lgkmcnt(0)
	v_mul_f64 v[0:1], v[114:115], v[10:11]
	v_add_f64 v[28:29], v[18:19], -v[12:13]
	v_add_f64 v[12:13], v[18:19], v[12:13]
	v_fma_f64 v[78:79], v[112:113], v[8:9], v[0:1]
	v_mul_f64 v[0:1], v[114:115], v[8:9]
	v_add_f64 v[8:9], v[24:25], v[32:33]
	v_add_f64 v[24:25], v[24:25], -v[32:33]
	v_mul_f64 v[28:29], v[28:29], s[18:19]
	v_add_f64 v[96:97], v[12:13], v[22:23]
	v_mul_f64 v[12:13], v[92:93], s[2:3]
	v_fma_f64 v[76:77], v[112:113], v[10:11], -v[0:1]
	v_add_f64 v[0:1], v[8:9], v[36:37]
	v_add_f64 v[14:15], v[16:17], -v[24:25]
	v_add_f64 v[26:27], v[24:25], -v[20:21]
	v_add_f64 v[24:25], v[16:17], v[24:25]
	v_add_f64 v[32:33], v[38:39], -v[8:9]
	v_add_f64 v[34:35], v[8:9], -v[36:37]
	;; [unrolled: 1-line block ×3, first 2 shown]
	v_add_f64 v[10:11], v[38:39], v[0:1]
	v_add_f64 v[0:1], v[86:87], v[84:85]
	v_mul_f64 v[94:95], v[14:15], s[18:19]
	v_add_f64 v[24:25], v[24:25], v[20:21]
	v_add_f64 v[38:39], v[84:85], -v[88:89]
	v_add_f64 v[86:87], v[86:87], -v[84:85]
	;; [unrolled: 1-line block ×3, first 2 shown]
	v_mul_f64 v[16:17], v[26:27], s[8:9]
	v_mul_f64 v[8:9], v[32:33], s[2:3]
	v_add_f64 v[90:91], v[88:89], v[0:1]
	ds_load_b128 v[0:3], v167
	ds_load_b128 v[4:7], v167 offset:896
	v_add_f64 v[88:89], v[22:23], -v[18:19]
	v_mul_f64 v[18:19], v[30:31], s[8:9]
	v_fma_f64 v[12:13], v[86:87], s[16:17], -v[12:13]
	s_waitcnt lgkmcnt(0)
	v_fma_f64 v[16:17], v[84:85], s[28:29], v[16:17]
	v_fma_f64 v[8:9], v[34:35], s[16:17], -v[8:9]
	s_barrier
	buffer_gl0_inv
	v_add_f64 v[0:1], v[0:1], v[10:11]
	v_add_f64 v[2:3], v[2:3], v[90:91]
	v_fma_f64 v[18:19], v[88:89], s[28:29], v[18:19]
	s_delay_alu instid0(VALU_DEP_3)
	v_fma_f64 v[98:99], v[10:11], s[14:15], v[0:1]
	v_fma_f64 v[10:11], v[26:27], s[12:13], -v[94:95]
	v_mul_f64 v[26:27], v[36:37], s[24:25]
	v_fma_f64 v[90:91], v[90:91], s[14:15], v[2:3]
	v_fma_f64 v[36:37], v[96:97], s[20:21], v[18:19]
	v_add_f64 v[102:103], v[8:9], v[98:99]
	v_fma_f64 v[14:15], v[24:25], s[20:21], v[10:11]
	v_fma_f64 v[10:11], v[30:31], s[12:13], -v[28:29]
	v_mul_f64 v[30:31], v[38:39], s[24:25]
	v_fma_f64 v[20:21], v[34:35], s[26:27], -v[26:27]
	v_fma_f64 v[34:35], v[24:25], s[20:21], v[16:17]
	v_fma_f64 v[28:29], v[88:89], s[22:23], v[28:29]
	;; [unrolled: 1-line block ×3, first 2 shown]
	v_add_f64 v[104:105], v[12:13], v[90:91]
	v_fma_f64 v[100:101], v[96:97], s[20:21], v[10:11]
	v_fma_f64 v[22:23], v[86:87], s[26:27], -v[30:31]
	v_fma_f64 v[30:31], v[92:93], s[2:3], v[30:31]
	v_add_f64 v[20:21], v[20:21], v[98:99]
	v_fma_f64 v[28:29], v[96:97], s[20:21], v[28:29]
	v_add_f64 v[26:27], v[26:27], v[98:99]
	v_add_f64 v[10:11], v[14:15], v[104:105]
	v_add_f64 v[14:15], v[104:105], -v[14:15]
	v_add_f64 v[8:9], v[102:103], -v[100:101]
	v_add_f64 v[22:23], v[22:23], v[90:91]
	v_add_f64 v[30:31], v[30:31], v[90:91]
	;; [unrolled: 1-line block ×4, first 2 shown]
	v_add_f64 v[20:21], v[20:21], -v[36:37]
	v_add_f64 v[88:89], v[26:27], -v[28:29]
	;; [unrolled: 1-line block ×3, first 2 shown]
	v_add_f64 v[22:23], v[34:35], v[22:23]
	v_fma_f64 v[34:35], v[84:85], s[22:23], v[94:95]
	v_add_f64 v[84:85], v[28:29], v[26:27]
	v_add_f64 v[26:27], v[58:59], -v[66:67]
	v_add_f64 v[28:29], v[76:77], -v[72:73]
	s_delay_alu instid0(VALU_DEP_4) | instskip(NEXT) | instid1(VALU_DEP_1)
	v_fma_f64 v[24:25], v[24:25], s[20:21], v[34:35]
	v_add_f64 v[86:87], v[30:31], -v[24:25]
	v_add_f64 v[90:91], v[24:25], v[30:31]
	ds_store_b128 v199, v[0:3]
	ds_store_b128 v199, v[84:87] offset:256
	ds_store_b128 v199, v[16:19] offset:512
	;; [unrolled: 1-line block ×6, first 2 shown]
	v_add_f64 v[12:13], v[58:59], v[66:67]
	v_add_f64 v[8:9], v[62:63], v[70:71]
	;; [unrolled: 1-line block ×6, first 2 shown]
	v_add_f64 v[30:31], v[56:57], -v[64:65]
	v_add_f64 v[24:25], v[78:79], -v[74:75]
	v_add_f64 v[0:1], v[8:9], v[12:13]
	v_add_f64 v[56:57], v[14:15], -v[8:9]
	v_add_f64 v[58:59], v[8:9], -v[12:13]
	;; [unrolled: 1-line block ×3, first 2 shown]
	s_delay_alu instid0(VALU_DEP_4) | instskip(SKIP_2) | instid1(VALU_DEP_2)
	v_add_f64 v[10:11], v[14:15], v[0:1]
	v_add_f64 v[0:1], v[18:19], v[16:17]
	v_add_f64 v[14:15], v[16:17], -v[20:21]
	v_add_f64 v[22:23], v[20:21], v[0:1]
	s_delay_alu instid0(VALU_DEP_4) | instskip(SKIP_1) | instid1(VALU_DEP_3)
	v_add_f64 v[0:1], v[4:5], v[10:11]
	v_add_f64 v[4:5], v[62:63], -v[70:71]
	v_add_f64 v[2:3], v[6:7], v[22:23]
	v_add_f64 v[6:7], v[60:61], -v[68:69]
	s_delay_alu instid0(VALU_DEP_3)
	v_add_f64 v[34:35], v[4:5], -v[26:27]
	v_add_f64 v[60:61], v[20:21], -v[18:19]
	;; [unrolled: 1-line block ×3, first 2 shown]
	v_add_f64 v[4:5], v[24:25], v[4:5]
	v_add_f64 v[18:19], v[18:19], -v[16:17]
	v_add_f64 v[20:21], v[26:27], -v[24:25]
	;; [unrolled: 1-line block ×3, first 2 shown]
	v_fma_f64 v[66:67], v[10:11], s[14:15], v[0:1]
	v_fma_f64 v[22:23], v[22:23], s[14:15], v[2:3]
	v_add_f64 v[36:37], v[28:29], -v[6:7]
	v_add_f64 v[38:39], v[6:7], -v[30:31]
	v_add_f64 v[6:7], v[28:29], v[6:7]
	v_mul_f64 v[16:17], v[34:35], s[8:9]
	v_add_f64 v[62:63], v[4:5], v[26:27]
	v_mul_f64 v[28:29], v[12:13], s[24:25]
	v_mul_f64 v[32:33], v[32:33], s[18:19]
	;; [unrolled: 1-line block ×5, first 2 shown]
	v_add_f64 v[64:65], v[6:7], v[30:31]
	v_mul_f64 v[6:7], v[60:61], s[2:3]
	v_mul_f64 v[30:31], v[14:15], s[24:25]
	v_fma_f64 v[12:13], v[20:21], s[28:29], v[16:17]
	v_fma_f64 v[8:9], v[34:35], s[12:13], -v[32:33]
	v_fma_f64 v[16:17], v[58:59], s[26:27], -v[28:29]
	v_fma_f64 v[20:21], v[20:21], s[22:23], v[32:33]
	v_fma_f64 v[4:5], v[58:59], s[16:17], -v[4:5]
	v_fma_f64 v[14:15], v[24:25], s[28:29], v[26:27]
	v_fma_f64 v[24:25], v[24:25], s[22:23], v[36:37]
	v_fma_f64 v[6:7], v[18:19], s[16:17], -v[6:7]
	v_fma_f64 v[18:19], v[18:19], s[26:27], -v[30:31]
	v_fma_f64 v[26:27], v[62:63], s[20:21], v[12:13]
	v_fma_f64 v[10:11], v[62:63], s[20:21], v[8:9]
	v_fma_f64 v[8:9], v[38:39], s[12:13], -v[36:37]
	v_add_f64 v[16:17], v[16:17], v[66:67]
	v_add_f64 v[68:69], v[4:5], v[66:67]
	v_fma_f64 v[34:35], v[64:65], s[20:21], v[14:15]
	v_fma_f64 v[24:25], v[64:65], s[20:21], v[24:25]
	v_add_f64 v[70:71], v[6:7], v[22:23]
	v_add_f64 v[18:19], v[18:19], v[22:23]
	v_fma_f64 v[8:9], v[64:65], s[20:21], v[8:9]
	v_add_f64 v[12:13], v[34:35], v[16:17]
	v_add_f64 v[16:17], v[16:17], -v[34:35]
	v_add_f64 v[6:7], v[10:11], v[70:71]
	v_add_f64 v[14:15], v[18:19], -v[26:27]
	v_add_f64 v[18:19], v[26:27], v[18:19]
	v_fma_f64 v[26:27], v[56:57], s[2:3], v[28:29]
	v_fma_f64 v[28:29], v[60:61], s[2:3], v[30:31]
	;; [unrolled: 1-line block ×3, first 2 shown]
	v_add_f64 v[4:5], v[68:69], -v[8:9]
	v_add_f64 v[8:9], v[8:9], v[68:69]
	v_add_f64 v[10:11], v[70:71], -v[10:11]
	v_add_f64 v[26:27], v[26:27], v[66:67]
	v_add_f64 v[28:29], v[28:29], v[22:23]
	s_delay_alu instid0(VALU_DEP_2) | instskip(NEXT) | instid1(VALU_DEP_2)
	v_add_f64 v[20:21], v[24:25], v[26:27]
	v_add_f64 v[22:23], v[28:29], -v[30:31]
	v_add_f64 v[56:57], v[26:27], -v[24:25]
	v_add_f64 v[58:59], v[30:31], v[28:29]
	ds_store_b128 v198, v[0:3]
	ds_store_b128 v198, v[20:23] offset:256
	ds_store_b128 v198, v[12:15] offset:512
	;; [unrolled: 1-line block ×6, first 2 shown]
	s_waitcnt lgkmcnt(0)
	s_barrier
	buffer_gl0_inv
	ds_load_b128 v[0:3], v167 offset:1792
	ds_load_b128 v[4:7], v167 offset:2688
	s_waitcnt lgkmcnt(1)
	v_mul_f64 v[8:9], v[82:83], v[2:3]
	s_delay_alu instid0(VALU_DEP_1) | instskip(SKIP_1) | instid1(VALU_DEP_1)
	v_fma_f64 v[20:21], v[80:81], v[0:1], v[8:9]
	v_mul_f64 v[0:1], v[82:83], v[0:1]
	v_fma_f64 v[22:23], v[80:81], v[2:3], -v[0:1]
	ds_load_b128 v[0:3], v167 offset:3584
	ds_load_b128 v[8:11], v167 offset:4480
	s_waitcnt lgkmcnt(1)
	v_mul_f64 v[12:13], v[126:127], v[2:3]
	s_delay_alu instid0(VALU_DEP_1) | instskip(SKIP_1) | instid1(VALU_DEP_1)
	v_fma_f64 v[24:25], v[124:125], v[0:1], v[12:13]
	v_mul_f64 v[0:1], v[126:127], v[0:1]
	v_fma_f64 v[26:27], v[124:125], v[2:3], -v[0:1]
	ds_load_b128 v[0:3], v167 offset:10752
	ds_load_b128 v[12:15], v167 offset:11648
	s_waitcnt lgkmcnt(1)
	v_mul_f64 v[16:17], v[146:147], v[2:3]
	s_delay_alu instid0(VALU_DEP_1) | instskip(SKIP_1) | instid1(VALU_DEP_2)
	v_fma_f64 v[28:29], v[144:145], v[0:1], v[16:17]
	v_mul_f64 v[0:1], v[146:147], v[0:1]
	v_add_f64 v[84:85], v[20:21], v[28:29]
	s_delay_alu instid0(VALU_DEP_2)
	v_fma_f64 v[30:31], v[144:145], v[2:3], -v[0:1]
	ds_load_b128 v[0:3], v167 offset:8960
	ds_load_b128 v[16:19], v167 offset:9856
	s_waitcnt lgkmcnt(1)
	v_mul_f64 v[32:33], v[138:139], v[2:3]
	v_add_f64 v[38:39], v[22:23], v[30:31]
	s_delay_alu instid0(VALU_DEP_2) | instskip(SKIP_1) | instid1(VALU_DEP_1)
	v_fma_f64 v[32:33], v[136:137], v[0:1], v[32:33]
	v_mul_f64 v[0:1], v[138:139], v[0:1]
	v_fma_f64 v[34:35], v[136:137], v[2:3], -v[0:1]
	v_mul_f64 v[0:1], v[154:155], v[6:7]
	s_delay_alu instid0(VALU_DEP_2) | instskip(NEXT) | instid1(VALU_DEP_2)
	v_add_f64 v[86:87], v[26:27], v[34:35]
	v_fma_f64 v[62:63], v[152:153], v[4:5], v[0:1]
	v_mul_f64 v[0:1], v[154:155], v[4:5]
	s_delay_alu instid0(VALU_DEP_1) | instskip(SKIP_1) | instid1(VALU_DEP_1)
	v_fma_f64 v[60:61], v[152:153], v[6:7], -v[0:1]
	v_mul_f64 v[0:1], v[150:151], v[10:11]
	v_fma_f64 v[66:67], v[148:149], v[8:9], v[0:1]
	v_mul_f64 v[0:1], v[150:151], v[8:9]
	s_delay_alu instid0(VALU_DEP_1) | instskip(SKIP_1) | instid1(VALU_DEP_1)
	v_fma_f64 v[64:65], v[148:149], v[10:11], -v[0:1]
	v_mul_f64 v[0:1], v[162:163], v[14:15]
	v_fma_f64 v[70:71], v[160:161], v[12:13], v[0:1]
	v_mul_f64 v[0:1], v[162:163], v[12:13]
	s_delay_alu instid0(VALU_DEP_2) | instskip(NEXT) | instid1(VALU_DEP_2)
	v_add_f64 v[92:93], v[62:63], v[70:71]
	v_fma_f64 v[68:69], v[160:161], v[14:15], -v[0:1]
	s_waitcnt lgkmcnt(0)
	v_mul_f64 v[0:1], v[158:159], v[18:19]
	s_delay_alu instid0(VALU_DEP_2) | instskip(NEXT) | instid1(VALU_DEP_2)
	v_add_f64 v[100:101], v[60:61], v[68:69]
	v_fma_f64 v[74:75], v[156:157], v[16:17], v[0:1]
	v_mul_f64 v[0:1], v[158:159], v[16:17]
	s_delay_alu instid0(VALU_DEP_2) | instskip(NEXT) | instid1(VALU_DEP_2)
	v_add_f64 v[94:95], v[66:67], v[74:75]
	v_fma_f64 v[72:73], v[156:157], v[18:19], -v[0:1]
	ds_load_b128 v[0:3], v167 offset:5376
	ds_load_b128 v[4:7], v167 offset:6272
	s_waitcnt lgkmcnt(1)
	v_mul_f64 v[8:9], v[130:131], v[2:3]
	v_add_f64 v[102:103], v[64:65], v[72:73]
	s_delay_alu instid0(VALU_DEP_2) | instskip(SKIP_1) | instid1(VALU_DEP_1)
	v_fma_f64 v[12:13], v[128:129], v[0:1], v[8:9]
	v_mul_f64 v[0:1], v[130:131], v[0:1]
	v_fma_f64 v[14:15], v[128:129], v[2:3], -v[0:1]
	ds_load_b128 v[0:3], v167 offset:7168
	ds_load_b128 v[8:11], v167 offset:8064
	s_waitcnt lgkmcnt(1)
	v_mul_f64 v[16:17], v[122:123], v[2:3]
	s_delay_alu instid0(VALU_DEP_1) | instskip(SKIP_1) | instid1(VALU_DEP_2)
	v_fma_f64 v[16:17], v[120:121], v[0:1], v[16:17]
	v_mul_f64 v[0:1], v[122:123], v[0:1]
	v_add_f64 v[36:37], v[12:13], v[16:17]
	s_delay_alu instid0(VALU_DEP_2) | instskip(SKIP_3) | instid1(VALU_DEP_4)
	v_fma_f64 v[18:19], v[120:121], v[2:3], -v[0:1]
	v_mul_f64 v[0:1], v[142:143], v[6:7]
	v_add_f64 v[12:13], v[16:17], -v[12:13]
	v_add_f64 v[16:17], v[20:21], -v[28:29]
	v_add_f64 v[88:89], v[14:15], v[18:19]
	s_delay_alu instid0(VALU_DEP_4) | instskip(SKIP_3) | instid1(VALU_DEP_3)
	v_fma_f64 v[78:79], v[140:141], v[4:5], v[0:1]
	v_mul_f64 v[0:1], v[142:143], v[4:5]
	v_add_f64 v[14:15], v[18:19], -v[14:15]
	v_add_f64 v[18:19], v[22:23], -v[30:31]
	v_fma_f64 v[76:77], v[140:141], v[6:7], -v[0:1]
	s_waitcnt lgkmcnt(0)
	v_mul_f64 v[0:1], v[134:135], v[10:11]
	s_delay_alu instid0(VALU_DEP_1) | instskip(SKIP_2) | instid1(VALU_DEP_3)
	v_fma_f64 v[82:83], v[132:133], v[8:9], v[0:1]
	v_mul_f64 v[0:1], v[134:135], v[8:9]
	v_add_f64 v[8:9], v[24:25], v[32:33]
	v_add_f64 v[96:97], v[78:79], v[82:83]
	s_delay_alu instid0(VALU_DEP_3) | instskip(NEXT) | instid1(VALU_DEP_3)
	v_fma_f64 v[80:81], v[132:133], v[10:11], -v[0:1]
	v_add_f64 v[0:1], v[8:9], v[84:85]
	v_add_f64 v[28:29], v[36:37], -v[8:9]
	v_add_f64 v[30:31], v[8:9], -v[84:85]
	s_delay_alu instid0(VALU_DEP_4) | instskip(NEXT) | instid1(VALU_DEP_4)
	v_add_f64 v[104:105], v[76:77], v[80:81]
	v_add_f64 v[10:11], v[36:37], v[0:1]
	;; [unrolled: 1-line block ×3, first 2 shown]
	v_add_f64 v[36:37], v[84:85], -v[36:37]
	v_add_f64 v[84:85], v[16:17], -v[12:13]
	s_delay_alu instid0(VALU_DEP_3)
	v_add_f64 v[90:91], v[88:89], v[0:1]
	ds_load_b128 v[0:3], v167
	ds_load_b128 v[4:7], v167 offset:896
	s_waitcnt lgkmcnt(1)
	v_add_f64 v[56:57], v[0:1], v[10:11]
	v_add_f64 v[0:1], v[94:95], v[92:93]
	;; [unrolled: 1-line block ×3, first 2 shown]
	s_delay_alu instid0(VALU_DEP_3) | instskip(NEXT) | instid1(VALU_DEP_3)
	v_fma_f64 v[110:111], v[10:11], s[14:15], v[56:57]
	v_add_f64 v[98:99], v[96:97], v[0:1]
	v_add_f64 v[0:1], v[102:103], v[100:101]
	s_delay_alu instid0(VALU_DEP_4) | instskip(NEXT) | instid1(VALU_DEP_2)
	v_fma_f64 v[90:91], v[90:91], s[14:15], v[58:59]
	v_add_f64 v[106:107], v[104:105], v[0:1]
	s_waitcnt lgkmcnt(0)
	s_delay_alu instid0(VALU_DEP_4) | instskip(SKIP_2) | instid1(VALU_DEP_4)
	v_add_f64 v[0:1], v[4:5], v[98:99]
	v_add_f64 v[4:5], v[24:25], -v[32:33]
	v_add_f64 v[32:33], v[88:89], -v[86:87]
	v_add_f64 v[2:3], v[6:7], v[106:107]
	v_add_f64 v[6:7], v[26:27], -v[34:35]
	s_delay_alu instid0(VALU_DEP_4)
	v_add_f64 v[20:21], v[12:13], -v[4:5]
	v_add_f64 v[22:23], v[4:5], -v[16:17]
	v_add_f64 v[4:5], v[12:13], v[4:5]
	v_add_f64 v[34:35], v[86:87], -v[38:39]
	v_add_f64 v[38:39], v[38:39], -v[88:89]
	;; [unrolled: 1-line block ×4, first 2 shown]
	v_mul_f64 v[20:21], v[20:21], s[18:19]
	v_add_f64 v[26:27], v[6:7], -v[18:19]
	v_add_f64 v[86:87], v[4:5], v[16:17]
	v_add_f64 v[6:7], v[14:15], v[6:7]
	v_mul_f64 v[12:13], v[22:23], s[8:9]
	v_mul_f64 v[4:5], v[28:29], s[2:3]
	;; [unrolled: 1-line block ×3, first 2 shown]
	v_fma_f64 v[8:9], v[22:23], s[12:13], -v[20:21]
	v_mul_f64 v[14:15], v[26:27], s[8:9]
	v_mul_f64 v[22:23], v[36:37], s[24:25]
	v_add_f64 v[108:109], v[6:7], v[18:19]
	v_fma_f64 v[12:13], v[84:85], s[28:29], v[12:13]
	v_fma_f64 v[4:5], v[30:31], s[16:17], -v[4:5]
	v_mul_f64 v[6:7], v[32:33], s[2:3]
	v_fma_f64 v[20:21], v[84:85], s[22:23], v[20:21]
	v_fma_f64 v[10:11], v[86:87], s[20:21], v[8:9]
	v_fma_f64 v[8:9], v[26:27], s[12:13], -v[24:25]
	v_mul_f64 v[26:27], v[38:39], s[24:25]
	v_fma_f64 v[14:15], v[88:89], s[28:29], v[14:15]
	v_fma_f64 v[16:17], v[30:31], s[26:27], -v[22:23]
	v_fma_f64 v[30:31], v[86:87], s[20:21], v[12:13]
	v_fma_f64 v[24:25], v[88:89], s[22:23], v[24:25]
	;; [unrolled: 1-line block ×3, first 2 shown]
	v_fma_f64 v[6:7], v[34:35], s[16:17], -v[6:7]
	v_fma_f64 v[28:29], v[86:87], s[20:21], v[20:21]
	v_fma_f64 v[88:89], v[106:107], s[14:15], v[2:3]
	v_add_f64 v[112:113], v[4:5], v[110:111]
	v_fma_f64 v[8:9], v[108:109], s[20:21], v[8:9]
	v_fma_f64 v[18:19], v[34:35], s[26:27], -v[26:27]
	v_fma_f64 v[26:27], v[32:33], s[2:3], v[26:27]
	v_fma_f64 v[34:35], v[108:109], s[20:21], v[14:15]
	v_add_f64 v[16:17], v[16:17], v[110:111]
	v_fma_f64 v[24:25], v[108:109], s[20:21], v[24:25]
	v_add_f64 v[32:33], v[80:81], -v[76:77]
	v_add_f64 v[76:77], v[96:97], -v[94:95]
	v_add_f64 v[114:115], v[6:7], v[90:91]
	v_add_f64 v[4:5], v[112:113], -v[8:9]
	v_add_f64 v[18:19], v[18:19], v[90:91]
	v_add_f64 v[26:27], v[26:27], v[90:91]
	;; [unrolled: 1-line block ×4, first 2 shown]
	v_add_f64 v[16:17], v[16:17], -v[34:35]
	v_add_f64 v[34:35], v[60:61], -v[68:69]
	v_add_f64 v[6:7], v[10:11], v[114:115]
	v_add_f64 v[10:11], v[114:115], -v[10:11]
	v_add_f64 v[14:15], v[18:19], -v[30:31]
	v_add_f64 v[18:19], v[30:31], v[18:19]
	v_add_f64 v[30:31], v[22:23], v[110:111]
	v_add_f64 v[22:23], v[26:27], -v[28:29]
	v_add_f64 v[86:87], v[28:29], v[26:27]
	v_add_f64 v[26:27], v[82:83], -v[78:79]
	v_add_f64 v[28:29], v[62:63], -v[70:71]
	;; [unrolled: 1-line block ×4, first 2 shown]
	v_fma_f64 v[82:83], v[98:99], s[14:15], v[0:1]
	v_add_f64 v[20:21], v[24:25], v[30:31]
	v_add_f64 v[84:85], v[30:31], -v[24:25]
	v_add_f64 v[24:25], v[66:67], -v[74:75]
	;; [unrolled: 1-line block ×4, first 2 shown]
	v_mul_f64 v[62:63], v[78:79], s[2:3]
	s_delay_alu instid0(VALU_DEP_4)
	v_add_f64 v[36:37], v[26:27], -v[24:25]
	v_add_f64 v[38:39], v[24:25], -v[28:29]
	v_add_f64 v[24:25], v[26:27], v[24:25]
	v_add_f64 v[60:61], v[32:33], -v[30:31]
	v_add_f64 v[68:69], v[30:31], -v[34:35]
	v_add_f64 v[30:31], v[32:33], v[30:31]
	v_fma_f64 v[62:63], v[72:73], s[16:17], -v[62:63]
	v_add_f64 v[26:27], v[28:29], -v[26:27]
	v_mul_f64 v[36:37], v[36:37], s[18:19]
	v_add_f64 v[24:25], v[24:25], v[28:29]
	v_mul_f64 v[80:81], v[60:61], s[18:19]
	v_mul_f64 v[60:61], v[76:77], s[2:3]
	v_add_f64 v[30:31], v[30:31], v[34:35]
	v_add_f64 v[90:91], v[62:63], v[88:89]
	v_add_f64 v[28:29], v[34:35], -v[32:33]
	v_mul_f64 v[32:33], v[38:39], s[8:9]
	v_mul_f64 v[34:35], v[68:69], s[8:9]
	s_mul_i32 s8, s4, 0xffffeb00
	v_fma_f64 v[64:65], v[38:39], s[12:13], -v[36:37]
	v_fma_f64 v[60:61], v[70:71], s[16:17], -v[60:61]
	s_delay_alu instid0(VALU_DEP_4) | instskip(NEXT) | instid1(VALU_DEP_4)
	v_fma_f64 v[32:33], v[26:27], s[28:29], v[32:33]
	v_fma_f64 v[34:35], v[28:29], s[28:29], v[34:35]
	;; [unrolled: 1-line block ×5, first 2 shown]
	v_fma_f64 v[64:65], v[68:69], s[12:13], -v[80:81]
	v_add_f64 v[74:75], v[60:61], v[82:83]
	v_fma_f64 v[32:33], v[24:25], s[20:21], v[32:33]
	v_fma_f64 v[34:35], v[30:31], s[20:21], v[34:35]
	;; [unrolled: 1-line block ×4, first 2 shown]
	v_add_f64 v[62:63], v[66:67], v[90:91]
	v_fma_f64 v[64:65], v[30:31], s[20:21], v[64:65]
	v_add_f64 v[66:67], v[90:91], -v[66:67]
	v_add_f64 v[90:91], v[100:101], -v[104:105]
	s_delay_alu instid0(VALU_DEP_3) | instskip(SKIP_2) | instid1(VALU_DEP_4)
	v_add_f64 v[60:61], v[74:75], -v[64:65]
	v_add_f64 v[64:65], v[64:65], v[74:75]
	v_add_f64 v[74:75], v[92:93], -v[96:97]
	v_mul_f64 v[90:91], v[90:91], s[24:25]
	s_delay_alu instid0(VALU_DEP_2) | instskip(NEXT) | instid1(VALU_DEP_1)
	v_mul_f64 v[38:39], v[74:75], s[24:25]
	v_fma_f64 v[68:69], v[70:71], s[26:27], -v[38:39]
	s_delay_alu instid0(VALU_DEP_3) | instskip(NEXT) | instid1(VALU_DEP_2)
	v_fma_f64 v[70:71], v[72:73], s[26:27], -v[90:91]
	v_add_f64 v[72:73], v[68:69], v[82:83]
	s_delay_alu instid0(VALU_DEP_2) | instskip(NEXT) | instid1(VALU_DEP_2)
	v_add_f64 v[74:75], v[70:71], v[88:89]
	v_add_f64 v[68:69], v[34:35], v[72:73]
	s_delay_alu instid0(VALU_DEP_2)
	v_add_f64 v[70:71], v[74:75], -v[32:33]
	v_add_f64 v[72:73], v[72:73], -v[34:35]
	v_add_f64 v[74:75], v[32:33], v[74:75]
	v_fma_f64 v[32:33], v[76:77], s[2:3], v[38:39]
	v_fma_f64 v[34:35], v[78:79], s[2:3], v[90:91]
	s_mov_b32 s2, 0xa72f0539
	s_mov_b32 s3, 0x3f54e5e0
	s_delay_alu instid0(VALU_DEP_2) | instskip(NEXT) | instid1(VALU_DEP_2)
	v_add_f64 v[28:29], v[32:33], v[82:83]
	v_add_f64 v[30:31], v[34:35], v[88:89]
	s_delay_alu instid0(VALU_DEP_2) | instskip(NEXT) | instid1(VALU_DEP_2)
	v_add_f64 v[76:77], v[26:27], v[28:29]
	v_add_f64 v[78:79], v[30:31], -v[24:25]
	v_add_f64 v[80:81], v[28:29], -v[26:27]
	v_add_f64 v[82:83], v[24:25], v[30:31]
	ds_store_b128 v167, v[56:59]
	ds_store_b128 v167, v[0:3] offset:896
	ds_store_b128 v167, v[20:23] offset:1792
	;; [unrolled: 1-line block ×13, first 2 shown]
	s_waitcnt lgkmcnt(0)
	s_barrier
	buffer_gl0_inv
	ds_load_b128 v[0:3], v167
	ds_load_b128 v[4:7], v167 offset:896
	scratch_load_b128 v[10:13], off, off offset:68 ; 16-byte Folded Reload
	s_waitcnt vmcnt(0) lgkmcnt(1)
	v_mul_f64 v[8:9], v[12:13], v[2:3]
	s_delay_alu instid0(VALU_DEP_1) | instskip(SKIP_1) | instid1(VALU_DEP_1)
	v_fma_f64 v[16:17], v[10:11], v[0:1], v[8:9]
	v_mul_f64 v[0:1], v[12:13], v[0:1]
	v_fma_f64 v[18:19], v[10:11], v[2:3], -v[0:1]
	ds_load_b128 v[0:3], v167 offset:6272
	ds_load_b128 v[8:11], v167 offset:5376
	scratch_load_b128 v[22:25], off, off offset:20 ; 16-byte Folded Reload
	s_waitcnt vmcnt(0) lgkmcnt(1)
	v_mul_f64 v[12:13], v[24:25], v[2:3]
	s_delay_alu instid0(VALU_DEP_1) | instskip(SKIP_2) | instid1(VALU_DEP_1)
	v_fma_f64 v[20:21], v[22:23], v[0:1], v[12:13]
	scratch_load_b128 v[12:15], off, off offset:36 ; 16-byte Folded Reload
	v_mul_f64 v[0:1], v[24:25], v[0:1]
	v_fma_f64 v[22:23], v[22:23], v[2:3], -v[0:1]
	s_waitcnt vmcnt(0)
	v_mul_f64 v[0:1], v[14:15], v[6:7]
	s_delay_alu instid0(VALU_DEP_1) | instskip(SKIP_1) | instid1(VALU_DEP_1)
	v_fma_f64 v[24:25], v[12:13], v[4:5], v[0:1]
	v_mul_f64 v[0:1], v[14:15], v[4:5]
	v_fma_f64 v[26:27], v[12:13], v[6:7], -v[0:1]
	ds_load_b128 v[0:3], v167 offset:7168
	ds_load_b128 v[4:7], v167 offset:8064
	scratch_load_b128 v[30:33], off, off offset:4 ; 16-byte Folded Reload
	s_waitcnt vmcnt(0) lgkmcnt(1)
	v_mul_f64 v[12:13], v[32:33], v[2:3]
	s_delay_alu instid0(VALU_DEP_1) | instskip(SKIP_1) | instid1(VALU_DEP_1)
	v_fma_f64 v[28:29], v[30:31], v[0:1], v[12:13]
	v_mul_f64 v[0:1], v[32:33], v[0:1]
	v_fma_f64 v[30:31], v[30:31], v[2:3], -v[0:1]
	ds_load_b128 v[0:3], v167 offset:1792
	ds_load_b128 v[12:15], v167 offset:2688
	scratch_load_b128 v[56:59], off, off offset:52 ; 16-byte Folded Reload
	s_waitcnt lgkmcnt(1)
	v_mul_f64 v[32:33], v[188:189], v[2:3]
	s_delay_alu instid0(VALU_DEP_1) | instskip(SKIP_1) | instid1(VALU_DEP_1)
	v_fma_f64 v[32:33], v[186:187], v[0:1], v[32:33]
	v_mul_f64 v[0:1], v[188:189], v[0:1]
	v_fma_f64 v[34:35], v[186:187], v[2:3], -v[0:1]
	s_waitcnt vmcnt(0)
	v_mul_f64 v[0:1], v[58:59], v[6:7]
	s_delay_alu instid0(VALU_DEP_1) | instskip(SKIP_1) | instid1(VALU_DEP_1)
	v_fma_f64 v[36:37], v[56:57], v[4:5], v[0:1]
	v_mul_f64 v[0:1], v[58:59], v[4:5]
	v_fma_f64 v[38:39], v[56:57], v[6:7], -v[0:1]
	s_waitcnt lgkmcnt(0)
	v_mul_f64 v[0:1], v[184:185], v[14:15]
	s_delay_alu instid0(VALU_DEP_1) | instskip(SKIP_1) | instid1(VALU_DEP_1)
	v_fma_f64 v[56:57], v[182:183], v[12:13], v[0:1]
	v_mul_f64 v[0:1], v[184:185], v[12:13]
	v_fma_f64 v[58:59], v[182:183], v[14:15], -v[0:1]
	ds_load_b128 v[0:3], v167 offset:8960
	ds_load_b128 v[4:7], v167 offset:9856
	s_waitcnt lgkmcnt(1)
	v_mul_f64 v[12:13], v[180:181], v[2:3]
	s_delay_alu instid0(VALU_DEP_1) | instskip(SKIP_1) | instid1(VALU_DEP_1)
	v_fma_f64 v[60:61], v[178:179], v[0:1], v[12:13]
	v_mul_f64 v[0:1], v[180:181], v[0:1]
	v_fma_f64 v[62:63], v[178:179], v[2:3], -v[0:1]
	ds_load_b128 v[0:3], v167 offset:3584
	ds_load_b128 v[12:15], v167 offset:4480
	s_waitcnt lgkmcnt(1)
	v_mul_f64 v[64:65], v[172:173], v[2:3]
	s_delay_alu instid0(VALU_DEP_1) | instskip(SKIP_1) | instid1(VALU_DEP_1)
	v_fma_f64 v[64:65], v[170:171], v[0:1], v[64:65]
	v_mul_f64 v[0:1], v[172:173], v[0:1]
	v_fma_f64 v[66:67], v[170:171], v[2:3], -v[0:1]
	v_mul_f64 v[0:1], v[176:177], v[6:7]
	s_delay_alu instid0(VALU_DEP_1) | instskip(SKIP_1) | instid1(VALU_DEP_1)
	v_fma_f64 v[68:69], v[174:175], v[4:5], v[0:1]
	v_mul_f64 v[0:1], v[176:177], v[4:5]
	v_fma_f64 v[70:71], v[174:175], v[6:7], -v[0:1]
	s_waitcnt lgkmcnt(0)
	v_mul_f64 v[0:1], v[42:43], v[14:15]
	s_delay_alu instid0(VALU_DEP_1) | instskip(SKIP_1) | instid1(VALU_DEP_1)
	v_fma_f64 v[72:73], v[40:41], v[12:13], v[0:1]
	v_mul_f64 v[0:1], v[42:43], v[12:13]
	v_fma_f64 v[40:41], v[40:41], v[14:15], -v[0:1]
	ds_load_b128 v[0:3], v167 offset:10752
	ds_load_b128 v[4:7], v167 offset:11648
	v_mul_f64 v[14:15], v[66:67], s[2:3]
	s_waitcnt lgkmcnt(1)
	v_mul_f64 v[12:13], v[50:51], v[2:3]
	s_delay_alu instid0(VALU_DEP_1) | instskip(SKIP_2) | instid1(VALU_DEP_2)
	v_fma_f64 v[42:43], v[48:49], v[0:1], v[12:13]
	v_mul_f64 v[0:1], v[50:51], v[0:1]
	v_mul_f64 v[12:13], v[64:65], s[2:3]
	v_fma_f64 v[48:49], v[48:49], v[2:3], -v[0:1]
	v_mul_f64 v[0:1], v[46:47], v[10:11]
	s_delay_alu instid0(VALU_DEP_1) | instskip(SKIP_1) | instid1(VALU_DEP_1)
	v_fma_f64 v[50:51], v[44:45], v[8:9], v[0:1]
	v_mul_f64 v[0:1], v[46:47], v[8:9]
	v_fma_f64 v[44:45], v[44:45], v[10:11], -v[0:1]
	s_waitcnt lgkmcnt(0)
	v_mul_f64 v[0:1], v[54:55], v[6:7]
	s_delay_alu instid0(VALU_DEP_1) | instskip(SKIP_3) | instid1(VALU_DEP_2)
	v_fma_f64 v[46:47], v[52:53], v[4:5], v[0:1]
	v_mul_f64 v[0:1], v[54:55], v[4:5]
	v_mad_u64_u32 v[4:5], null, s6, v194, 0
	s_mul_i32 s6, s4, 0x1880
	v_fma_f64 v[52:53], v[52:53], v[6:7], -v[0:1]
	s_delay_alu instid0(VALU_DEP_2) | instskip(SKIP_1) | instid1(VALU_DEP_2)
	v_mov_b32_e32 v0, v5
	v_mad_u64_u32 v[6:7], null, s4, v166, 0
	v_mad_u64_u32 v[1:2], null, s7, v194, v[0:1]
	v_mul_f64 v[2:3], v[18:19], s[2:3]
	s_mul_i32 s7, s5, 0xffffeb00
	s_delay_alu instid0(VALU_DEP_3) | instskip(SKIP_1) | instid1(VALU_DEP_4)
	v_mad_u64_u32 v[8:9], null, s5, v166, v[7:8]
	v_mul_f64 v[18:19], v[70:71], s[2:3]
	v_mov_b32_e32 v5, v1
	v_mul_f64 v[0:1], v[16:17], s[2:3]
	v_mul_f64 v[16:17], v[68:69], s[2:3]
	v_mov_b32_e32 v7, v8
	s_delay_alu instid0(VALU_DEP_4) | instskip(NEXT) | instid1(VALU_DEP_1)
	v_lshlrev_b64 v[4:5], 4, v[4:5]
	v_add_co_u32 v8, vcc_lo, s0, v4
	s_delay_alu instid0(VALU_DEP_2) | instskip(NEXT) | instid1(VALU_DEP_4)
	v_add_co_ci_u32_e32 v9, vcc_lo, s1, v5, vcc_lo
	v_lshlrev_b64 v[4:5], 4, v[6:7]
	scratch_load_b32 v6, off, off           ; 4-byte Folded Reload
	s_mul_i32 s0, s5, 0x1880
	s_mul_hi_u32 s1, s4, 0x1880
	s_delay_alu instid0(SALU_CYCLE_1) | instskip(SKIP_3) | instid1(SALU_CYCLE_1)
	s_add_i32 s1, s1, s0
	v_add_co_u32 v4, vcc_lo, v8, v4
	v_add_co_ci_u32_e32 v5, vcc_lo, v9, v5, vcc_lo
	s_mul_hi_u32 s0, s4, 0xffffeb00
	s_sub_i32 s0, s0, s4
	s_delay_alu instid0(SALU_CYCLE_1)
	s_add_i32 s0, s0, s7
	global_store_b128 v[4:5], v[0:3], off
	v_mul_f64 v[0:1], v[20:21], s[2:3]
	v_mul_f64 v[2:3], v[22:23], s[2:3]
	v_add_co_u32 v4, vcc_lo, v4, s6
	v_add_co_ci_u32_e32 v5, vcc_lo, s1, v5, vcc_lo
	v_mul_f64 v[20:21], v[72:73], s[2:3]
	v_mul_f64 v[22:23], v[40:41], s[2:3]
	global_store_b128 v[4:5], v[0:3], off
	v_mul_f64 v[0:1], v[24:25], s[2:3]
	v_mul_f64 v[2:3], v[26:27], s[2:3]
	v_add_co_u32 v4, vcc_lo, v4, s8
	v_add_co_ci_u32_e32 v5, vcc_lo, s0, v5, vcc_lo
	v_mul_f64 v[24:25], v[42:43], s[2:3]
	v_mul_f64 v[26:27], v[48:49], s[2:3]
	global_store_b128 v[4:5], v[0:3], off
	s_waitcnt vmcnt(0)
	v_mad_u64_u32 v[0:1], null, s4, v6, 0
	s_delay_alu instid0(VALU_DEP_1) | instskip(NEXT) | instid1(VALU_DEP_1)
	v_mad_u64_u32 v[2:3], null, s5, v6, v[1:2]
	v_mov_b32_e32 v1, v2
	v_mul_f64 v[2:3], v[30:31], s[2:3]
	v_mul_f64 v[30:31], v[44:45], s[2:3]
	s_delay_alu instid0(VALU_DEP_3) | instskip(NEXT) | instid1(VALU_DEP_1)
	v_lshlrev_b64 v[0:1], 4, v[0:1]
	v_add_co_u32 v6, vcc_lo, v8, v0
	s_delay_alu instid0(VALU_DEP_2) | instskip(SKIP_4) | instid1(VALU_DEP_3)
	v_add_co_ci_u32_e32 v7, vcc_lo, v9, v1, vcc_lo
	v_mul_f64 v[0:1], v[28:29], s[2:3]
	v_mad_u64_u32 v[8:9], null, 0x380, s4, v[4:5]
	v_mul_f64 v[4:5], v[36:37], s[2:3]
	v_mul_f64 v[28:29], v[50:51], s[2:3]
	v_mad_u64_u32 v[10:11], null, 0x380, s5, v[9:10]
	s_delay_alu instid0(VALU_DEP_4) | instskip(NEXT) | instid1(VALU_DEP_2)
	v_add_co_u32 v36, vcc_lo, v8, s6
	v_mov_b32_e32 v9, v10
	v_mul_f64 v[10:11], v[62:63], s[2:3]
	s_delay_alu instid0(VALU_DEP_2)
	v_add_co_ci_u32_e32 v37, vcc_lo, s1, v9, vcc_lo
	global_store_b128 v[6:7], v[0:3], off
	v_mul_f64 v[0:1], v[32:33], s[2:3]
	v_mul_f64 v[2:3], v[34:35], s[2:3]
	v_mul_f64 v[6:7], v[38:39], s[2:3]
	v_add_co_u32 v38, vcc_lo, v36, s8
	v_add_co_ci_u32_e32 v39, vcc_lo, s0, v37, vcc_lo
	v_mul_f64 v[32:33], v[46:47], s[2:3]
	v_mul_f64 v[34:35], v[52:53], s[2:3]
	s_delay_alu instid0(VALU_DEP_4) | instskip(NEXT) | instid1(VALU_DEP_4)
	v_add_co_u32 v40, vcc_lo, v38, s6
	v_add_co_ci_u32_e32 v41, vcc_lo, s1, v39, vcc_lo
	s_delay_alu instid0(VALU_DEP_2) | instskip(NEXT) | instid1(VALU_DEP_2)
	v_add_co_u32 v42, vcc_lo, v40, s8
	v_add_co_ci_u32_e32 v43, vcc_lo, s0, v41, vcc_lo
	global_store_b128 v[8:9], v[0:3], off
	v_mul_f64 v[0:1], v[56:57], s[2:3]
	v_mul_f64 v[2:3], v[58:59], s[2:3]
	;; [unrolled: 1-line block ×3, first 2 shown]
	global_store_b128 v[36:37], v[4:7], off
	v_add_co_u32 v4, vcc_lo, v42, s6
	v_add_co_ci_u32_e32 v5, vcc_lo, s1, v43, vcc_lo
	s_delay_alu instid0(VALU_DEP_2) | instskip(NEXT) | instid1(VALU_DEP_2)
	v_add_co_u32 v6, vcc_lo, v4, s8
	v_add_co_ci_u32_e32 v7, vcc_lo, s0, v5, vcc_lo
	s_delay_alu instid0(VALU_DEP_2) | instskip(NEXT) | instid1(VALU_DEP_2)
	v_add_co_u32 v36, vcc_lo, v6, s6
	v_add_co_ci_u32_e32 v37, vcc_lo, s1, v7, vcc_lo
	global_store_b128 v[38:39], v[0:3], off
	v_add_co_u32 v0, vcc_lo, v36, s8
	v_add_co_ci_u32_e32 v1, vcc_lo, s0, v37, vcc_lo
	s_delay_alu instid0(VALU_DEP_2) | instskip(NEXT) | instid1(VALU_DEP_2)
	v_add_co_u32 v2, vcc_lo, v0, s6
	v_add_co_ci_u32_e32 v3, vcc_lo, s1, v1, vcc_lo
	global_store_b128 v[40:41], v[8:11], off
	global_store_b128 v[42:43], v[12:15], off
	;; [unrolled: 1-line block ×7, first 2 shown]
.LBB0_2:
	s_nop 0
	s_sendmsg sendmsg(MSG_DEALLOC_VGPRS)
	s_endpgm
	.section	.rodata,"a",@progbits
	.p2align	6, 0x0
	.amdhsa_kernel bluestein_single_back_len784_dim1_dp_op_CI_CI
		.amdhsa_group_segment_fixed_size 12544
		.amdhsa_private_segment_fixed_size 192
		.amdhsa_kernarg_size 104
		.amdhsa_user_sgpr_count 15
		.amdhsa_user_sgpr_dispatch_ptr 0
		.amdhsa_user_sgpr_queue_ptr 0
		.amdhsa_user_sgpr_kernarg_segment_ptr 1
		.amdhsa_user_sgpr_dispatch_id 0
		.amdhsa_user_sgpr_private_segment_size 0
		.amdhsa_wavefront_size32 1
		.amdhsa_uses_dynamic_stack 0
		.amdhsa_enable_private_segment 1
		.amdhsa_system_sgpr_workgroup_id_x 1
		.amdhsa_system_sgpr_workgroup_id_y 0
		.amdhsa_system_sgpr_workgroup_id_z 0
		.amdhsa_system_sgpr_workgroup_info 0
		.amdhsa_system_vgpr_workitem_id 0
		.amdhsa_next_free_vgpr 256
		.amdhsa_next_free_sgpr 32
		.amdhsa_reserve_vcc 1
		.amdhsa_float_round_mode_32 0
		.amdhsa_float_round_mode_16_64 0
		.amdhsa_float_denorm_mode_32 3
		.amdhsa_float_denorm_mode_16_64 3
		.amdhsa_dx10_clamp 1
		.amdhsa_ieee_mode 1
		.amdhsa_fp16_overflow 0
		.amdhsa_workgroup_processor_mode 1
		.amdhsa_memory_ordered 1
		.amdhsa_forward_progress 0
		.amdhsa_shared_vgpr_count 0
		.amdhsa_exception_fp_ieee_invalid_op 0
		.amdhsa_exception_fp_denorm_src 0
		.amdhsa_exception_fp_ieee_div_zero 0
		.amdhsa_exception_fp_ieee_overflow 0
		.amdhsa_exception_fp_ieee_underflow 0
		.amdhsa_exception_fp_ieee_inexact 0
		.amdhsa_exception_int_div_zero 0
	.end_amdhsa_kernel
	.text
.Lfunc_end0:
	.size	bluestein_single_back_len784_dim1_dp_op_CI_CI, .Lfunc_end0-bluestein_single_back_len784_dim1_dp_op_CI_CI
                                        ; -- End function
	.section	.AMDGPU.csdata,"",@progbits
; Kernel info:
; codeLenInByte = 19480
; NumSgprs: 34
; NumVgprs: 256
; ScratchSize: 192
; MemoryBound: 0
; FloatMode: 240
; IeeeMode: 1
; LDSByteSize: 12544 bytes/workgroup (compile time only)
; SGPRBlocks: 4
; VGPRBlocks: 31
; NumSGPRsForWavesPerEU: 34
; NumVGPRsForWavesPerEU: 256
; Occupancy: 5
; WaveLimiterHint : 1
; COMPUTE_PGM_RSRC2:SCRATCH_EN: 1
; COMPUTE_PGM_RSRC2:USER_SGPR: 15
; COMPUTE_PGM_RSRC2:TRAP_HANDLER: 0
; COMPUTE_PGM_RSRC2:TGID_X_EN: 1
; COMPUTE_PGM_RSRC2:TGID_Y_EN: 0
; COMPUTE_PGM_RSRC2:TGID_Z_EN: 0
; COMPUTE_PGM_RSRC2:TIDIG_COMP_CNT: 0
	.text
	.p2alignl 7, 3214868480
	.fill 96, 4, 3214868480
	.type	__hip_cuid_b1c6e8fe9a5e3b31,@object ; @__hip_cuid_b1c6e8fe9a5e3b31
	.section	.bss,"aw",@nobits
	.globl	__hip_cuid_b1c6e8fe9a5e3b31
__hip_cuid_b1c6e8fe9a5e3b31:
	.byte	0                               ; 0x0
	.size	__hip_cuid_b1c6e8fe9a5e3b31, 1

	.ident	"AMD clang version 19.0.0git (https://github.com/RadeonOpenCompute/llvm-project roc-6.4.0 25133 c7fe45cf4b819c5991fe208aaa96edf142730f1d)"
	.section	".note.GNU-stack","",@progbits
	.addrsig
	.addrsig_sym __hip_cuid_b1c6e8fe9a5e3b31
	.amdgpu_metadata
---
amdhsa.kernels:
  - .args:
      - .actual_access:  read_only
        .address_space:  global
        .offset:         0
        .size:           8
        .value_kind:     global_buffer
      - .actual_access:  read_only
        .address_space:  global
        .offset:         8
        .size:           8
        .value_kind:     global_buffer
      - .actual_access:  read_only
        .address_space:  global
        .offset:         16
        .size:           8
        .value_kind:     global_buffer
      - .actual_access:  read_only
        .address_space:  global
        .offset:         24
        .size:           8
        .value_kind:     global_buffer
      - .actual_access:  read_only
        .address_space:  global
        .offset:         32
        .size:           8
        .value_kind:     global_buffer
      - .offset:         40
        .size:           8
        .value_kind:     by_value
      - .address_space:  global
        .offset:         48
        .size:           8
        .value_kind:     global_buffer
      - .address_space:  global
        .offset:         56
        .size:           8
        .value_kind:     global_buffer
      - .address_space:  global
        .offset:         64
        .size:           8
        .value_kind:     global_buffer
      - .address_space:  global
        .offset:         72
        .size:           8
        .value_kind:     global_buffer
      - .offset:         80
        .size:           4
        .value_kind:     by_value
      - .address_space:  global
        .offset:         88
        .size:           8
        .value_kind:     global_buffer
      - .address_space:  global
        .offset:         96
        .size:           8
        .value_kind:     global_buffer
    .group_segment_fixed_size: 12544
    .kernarg_segment_align: 8
    .kernarg_segment_size: 104
    .language:       OpenCL C
    .language_version:
      - 2
      - 0
    .max_flat_workgroup_size: 56
    .name:           bluestein_single_back_len784_dim1_dp_op_CI_CI
    .private_segment_fixed_size: 192
    .sgpr_count:     34
    .sgpr_spill_count: 0
    .symbol:         bluestein_single_back_len784_dim1_dp_op_CI_CI.kd
    .uniform_work_group_size: 1
    .uses_dynamic_stack: false
    .vgpr_count:     256
    .vgpr_spill_count: 47
    .wavefront_size: 32
    .workgroup_processor_mode: 1
amdhsa.target:   amdgcn-amd-amdhsa--gfx1100
amdhsa.version:
  - 1
  - 2
...

	.end_amdgpu_metadata
